;; amdgpu-corpus repo=ROCm/rocFFT kind=compiled arch=gfx1201 opt=O3
	.text
	.amdgcn_target "amdgcn-amd-amdhsa--gfx1201"
	.amdhsa_code_object_version 6
	.protected	bluestein_single_fwd_len935_dim1_dp_op_CI_CI ; -- Begin function bluestein_single_fwd_len935_dim1_dp_op_CI_CI
	.globl	bluestein_single_fwd_len935_dim1_dp_op_CI_CI
	.p2align	8
	.type	bluestein_single_fwd_len935_dim1_dp_op_CI_CI,@function
bluestein_single_fwd_len935_dim1_dp_op_CI_CI: ; @bluestein_single_fwd_len935_dim1_dp_op_CI_CI
; %bb.0:
	s_load_b128 s[8:11], s[0:1], 0x28
	v_mul_u32_u24_e32 v1, 0x304, v0
	s_mov_b32 s2, exec_lo
	s_delay_alu instid0(VALU_DEP_1) | instskip(NEXT) | instid1(VALU_DEP_1)
	v_lshrrev_b32_e32 v1, 16, v1
	v_mad_co_u64_u32 v[172:173], null, ttmp9, 3, v[1:2]
	v_mov_b32_e32 v173, 0
	s_wait_kmcnt 0x0
	s_delay_alu instid0(VALU_DEP_1)
	v_cmpx_gt_u64_e64 s[8:9], v[172:173]
	s_cbranch_execz .LBB0_23
; %bb.1:
	v_mul_hi_u32 v2, 0xaaaaaaab, v172
	s_clause 0x1
	s_load_b64 s[8:9], s[0:1], 0x0
	s_load_b64 s[12:13], s[0:1], 0x38
	v_mul_lo_u16 v1, 0x55, v1
	s_delay_alu instid0(VALU_DEP_1) | instskip(NEXT) | instid1(VALU_DEP_3)
	v_sub_nc_u16 v0, v0, v1
	v_lshrrev_b32_e32 v2, 1, v2
	s_delay_alu instid0(VALU_DEP_2) | instskip(NEXT) | instid1(VALU_DEP_2)
	v_cmp_gt_u16_e32 vcc_lo, 55, v0
	v_lshl_add_u32 v2, v2, 1, v2
	s_delay_alu instid0(VALU_DEP_1) | instskip(SKIP_1) | instid1(VALU_DEP_2)
	v_sub_nc_u32_e32 v1, v172, v2
	v_and_b32_e32 v2, 0xffff, v0
	v_mul_u32_u24_e32 v1, 0x3a7, v1
	s_delay_alu instid0(VALU_DEP_2)
	v_lshlrev_b32_e32 v255, 4, v2
	scratch_store_b32 off, v2, off          ; 4-byte Folded Spill
	v_lshlrev_b32_e32 v0, 4, v1
	s_clause 0x1
	scratch_store_b32 off, v1, off offset:4
	scratch_store_b32 off, v0, off offset:8
	s_and_saveexec_b32 s3, vcc_lo
	s_cbranch_execz .LBB0_3
; %bb.2:
	scratch_load_b32 v173, off, off         ; 4-byte Folded Reload
	s_load_b64 s[4:5], s[0:1], 0x18
	s_wait_kmcnt 0x0
	s_load_b128 s[4:7], s[4:5], 0x0
	s_wait_kmcnt 0x0
	v_mad_co_u64_u32 v[16:17], null, s6, v172, 0
	s_wait_loadcnt 0x0
	v_mad_co_u64_u32 v[32:33], null, s4, v173, 0
	s_delay_alu instid0(VALU_DEP_1) | instskip(NEXT) | instid1(VALU_DEP_1)
	v_dual_mov_b32 v0, v17 :: v_dual_mov_b32 v1, v33
	v_mad_co_u64_u32 v[2:3], null, s7, v172, v[0:1]
	s_delay_alu instid0(VALU_DEP_1)
	v_mad_co_u64_u32 v[18:19], null, s5, v173, v[1:2]
	v_mov_b32_e32 v17, v2
	s_mul_u64 s[4:5], s[4:5], 0x370
	s_clause 0x3
	global_load_b128 v[0:3], v255, s[8:9]
	global_load_b128 v[4:7], v255, s[8:9] offset:880
	global_load_b128 v[8:11], v255, s[8:9] offset:1760
	;; [unrolled: 1-line block ×3, first 2 shown]
	v_lshlrev_b64_e32 v[34:35], 4, v[16:17]
	v_mov_b32_e32 v33, v18
	s_clause 0x3
	global_load_b128 v[16:19], v255, s[8:9] offset:3520
	global_load_b128 v[20:23], v255, s[8:9] offset:4400
	;; [unrolled: 1-line block ×4, first 2 shown]
	v_add_co_u32 v42, s2, s10, v34
	v_lshlrev_b64_e32 v[40:41], 4, v[32:33]
	v_add_co_ci_u32_e64 v43, s2, s11, v35, s2
	s_clause 0x1
	global_load_b128 v[32:35], v255, s[8:9] offset:7040
	global_load_b128 v[36:39], v255, s[8:9] offset:7920
	v_add_co_u32 v56, s2, v42, v40
	s_wait_alu 0xf1ff
	v_add_co_ci_u32_e64 v57, s2, v43, v41, s2
	s_clause 0x1
	global_load_b128 v[40:43], v255, s[8:9] offset:8800
	global_load_b128 v[44:47], v255, s[8:9] offset:9680
	s_wait_alu 0xfffe
	v_add_co_u32 v60, s2, v56, s4
	s_wait_alu 0xf1ff
	v_add_co_ci_u32_e64 v61, s2, s5, v57, s2
	s_clause 0x1
	global_load_b128 v[48:51], v255, s[8:9] offset:10560
	global_load_b128 v[52:55], v255, s[8:9] offset:11440
	v_add_co_u32 v64, s2, v60, s4
	s_wait_alu 0xf1ff
	v_add_co_ci_u32_e64 v65, s2, s5, v61, s2
	s_clause 0x1
	global_load_b128 v[56:59], v[56:57], off
	global_load_b128 v[60:63], v[60:61], off
	v_add_co_u32 v68, s2, v64, s4
	s_wait_alu 0xf1ff
	v_add_co_ci_u32_e64 v69, s2, s5, v65, s2
	s_delay_alu instid0(VALU_DEP_2) | instskip(SKIP_1) | instid1(VALU_DEP_2)
	v_add_co_u32 v72, s2, v68, s4
	s_wait_alu 0xf1ff
	v_add_co_ci_u32_e64 v73, s2, s5, v69, s2
	s_clause 0x1
	global_load_b128 v[64:67], v[64:65], off
	global_load_b128 v[68:71], v[68:69], off
	v_add_co_u32 v76, s2, v72, s4
	s_wait_alu 0xf1ff
	v_add_co_ci_u32_e64 v77, s2, s5, v73, s2
	global_load_b128 v[72:75], v[72:73], off
	v_add_co_u32 v80, s2, v76, s4
	s_wait_alu 0xf1ff
	v_add_co_ci_u32_e64 v81, s2, s5, v77, s2
	;; [unrolled: 4-line block ×12, first 2 shown]
	s_clause 0x1
	global_load_b128 v[116:119], v255, s[8:9] offset:12320
	global_load_b128 v[120:123], v255, s[8:9] offset:13200
	global_load_b128 v[124:127], v[124:125], off
	global_load_b128 v[128:131], v255, s[8:9] offset:14080
	global_load_b128 v[132:135], v[132:133], off
	s_wait_loadcnt 0x13
	v_mul_f64_e32 v[136:137], v[58:59], v[2:3]
	v_mul_f64_e32 v[2:3], v[56:57], v[2:3]
	s_wait_loadcnt 0x12
	v_mul_f64_e32 v[138:139], v[62:63], v[6:7]
	v_mul_f64_e32 v[6:7], v[60:61], v[6:7]
	;; [unrolled: 3-line block ×14, first 2 shown]
	v_fma_f64 v[54:55], v[56:57], v[0:1], v[136:137]
	v_fma_f64 v[56:57], v[58:59], v[0:1], -v[2:3]
	v_fma_f64 v[0:1], v[60:61], v[4:5], v[138:139]
	v_fma_f64 v[2:3], v[62:63], v[4:5], -v[6:7]
	;; [unrolled: 2-line block ×10, first 2 shown]
	s_wait_loadcnt 0x4
	v_mul_f64_e32 v[166:167], v[114:115], v[118:119]
	v_fma_f64 v[36:37], v[96:97], v[40:41], v[156:157]
	v_fma_f64 v[38:39], v[98:99], v[40:41], -v[42:43]
	v_mul_f64_e32 v[118:119], v[112:113], v[118:119]
	s_wait_loadcnt 0x2
	v_mul_f64_e32 v[168:169], v[126:127], v[122:123]
	v_mul_f64_e32 v[122:123], v[124:125], v[122:123]
	v_fma_f64 v[40:41], v[100:101], v[44:45], v[158:159]
	v_fma_f64 v[42:43], v[102:103], v[44:45], -v[46:47]
	s_wait_loadcnt 0x0
	v_mul_f64_e32 v[170:171], v[134:135], v[130:131]
	v_mul_f64_e32 v[130:131], v[132:133], v[130:131]
	v_fma_f64 v[44:45], v[104:105], v[48:49], v[160:161]
	v_fma_f64 v[46:47], v[106:107], v[48:49], -v[50:51]
	v_fma_f64 v[48:49], v[108:109], v[52:53], v[162:163]
	v_fma_f64 v[50:51], v[110:111], v[52:53], -v[164:165]
	scratch_load_b32 v53, off, off offset:8 ; 4-byte Folded Reload
	v_fma_f64 v[58:59], v[112:113], v[116:117], v[166:167]
	v_fma_f64 v[60:61], v[114:115], v[116:117], -v[118:119]
	v_fma_f64 v[62:63], v[124:125], v[120:121], v[168:169]
	v_fma_f64 v[64:65], v[126:127], v[120:121], -v[122:123]
	;; [unrolled: 2-line block ×3, first 2 shown]
	s_wait_loadcnt 0x0
	v_lshl_add_u32 v52, v173, 4, v53
	v_add_nc_u32_e32 v53, v53, v255
	ds_store_b128 v52, v[54:57]
	ds_store_b128 v53, v[0:3] offset:880
	ds_store_b128 v53, v[4:7] offset:1760
	ds_store_b128 v53, v[8:11] offset:2640
	ds_store_b128 v53, v[12:15] offset:3520
	ds_store_b128 v53, v[16:19] offset:4400
	ds_store_b128 v53, v[20:23] offset:5280
	ds_store_b128 v53, v[24:27] offset:6160
	ds_store_b128 v53, v[28:31] offset:7040
	ds_store_b128 v53, v[32:35] offset:7920
	ds_store_b128 v53, v[36:39] offset:8800
	ds_store_b128 v53, v[40:43] offset:9680
	ds_store_b128 v53, v[44:47] offset:10560
	ds_store_b128 v53, v[48:51] offset:11440
	ds_store_b128 v53, v[58:61] offset:12320
	ds_store_b128 v53, v[62:65] offset:13200
	ds_store_b128 v53, v[66:69] offset:14080
.LBB0_3:
	s_or_b32 exec_lo, exec_lo, s3
	s_clause 0x1
	s_load_b64 s[4:5], s[0:1], 0x20
	s_load_b64 s[2:3], s[0:1], 0x8
	global_wb scope:SCOPE_SE
	s_wait_storecnt_dscnt 0x0
	s_wait_kmcnt 0x0
	s_barrier_signal -1
	s_barrier_wait -1
	global_inv scope:SCOPE_SE
                                        ; implicit-def: $vgpr8_vgpr9
                                        ; implicit-def: $vgpr24_vgpr25
                                        ; implicit-def: $vgpr28_vgpr29
                                        ; implicit-def: $vgpr32_vgpr33
                                        ; implicit-def: $vgpr36_vgpr37
                                        ; implicit-def: $vgpr40_vgpr41
                                        ; implicit-def: $vgpr44_vgpr45
                                        ; implicit-def: $vgpr48_vgpr49
                                        ; implicit-def: $vgpr56_vgpr57
                                        ; implicit-def: $vgpr60_vgpr61
                                        ; implicit-def: $vgpr64_vgpr65
                                        ; implicit-def: $vgpr68_vgpr69
                                        ; implicit-def: $vgpr72_vgpr73
                                        ; implicit-def: $vgpr52_vgpr53
                                        ; implicit-def: $vgpr20_vgpr21
                                        ; implicit-def: $vgpr16_vgpr17
                                        ; implicit-def: $vgpr12_vgpr13
	s_and_saveexec_b32 s0, vcc_lo
	s_cbranch_execz .LBB0_5
; %bb.4:
	scratch_load_b32 v0, off, off offset:4  ; 4-byte Folded Reload
	s_wait_loadcnt 0x0
	v_lshl_add_u32 v0, v0, 4, v255
	ds_load_b128 v[8:11], v0
	ds_load_b128 v[24:27], v0 offset:880
	ds_load_b128 v[28:31], v0 offset:1760
	;; [unrolled: 1-line block ×16, first 2 shown]
.LBB0_5:
	s_wait_alu 0xfffe
	s_or_b32 exec_lo, exec_lo, s0
	s_wait_dscnt 0x0
	v_add_f64_e64 v[146:147], v[26:27], -v[14:15]
	v_add_f64_e64 v[80:81], v[30:31], -v[18:19]
	s_mov_b32 s0, 0x5d8e7cdc
	s_mov_b32 s10, 0x2a9d6da3
	;; [unrolled: 1-line block ×4, first 2 shown]
	v_add_f64_e32 v[134:135], v[24:25], v[12:13]
	v_add_f64_e64 v[90:91], v[28:29], -v[16:17]
	s_mov_b32 s6, 0x370991
	s_mov_b32 s38, 0xacd6c6b4
	;; [unrolled: 1-line block ×4, first 2 shown]
	v_add_f64_e32 v[76:77], v[28:29], v[16:17]
	s_mov_b32 s14, 0x75d4884
	s_mov_b32 s15, 0x3fe7a5f6
	v_add_f64_e64 v[187:188], v[24:25], -v[12:13]
	v_add_f64_e32 v[183:184], v[26:27], v[14:15]
	v_add_f64_e32 v[82:83], v[30:31], v[18:19]
	v_add_f64_e64 v[92:93], v[34:35], -v[22:23]
	s_mov_b32 s18, 0x7c9e640b
	s_mov_b32 s19, 0xbfeca52d
	v_add_f64_e32 v[86:87], v[32:33], v[20:21]
	s_mov_b32 s16, 0x2b2883cd
	s_mov_b32 s24, 0xeb564b22
	;; [unrolled: 1-line block ×4, first 2 shown]
	v_add_f64_e64 v[118:119], v[32:33], -v[20:21]
	v_add_f64_e32 v[114:115], v[34:35], v[22:23]
	s_mov_b32 s34, 0x6c9a05f6
	s_mov_b32 s35, 0xbfe9895b
	v_add_f64_e64 v[120:121], v[38:39], -v[54:55]
	v_add_f64_e32 v[94:95], v[36:37], v[52:53]
	s_mov_b32 s20, 0x3259b75e
	s_mov_b32 s21, 0x3fb79ee6
	;; [unrolled: 4-line block ×3, first 2 shown]
	s_wait_alu 0xfffe
	v_mul_f64_e32 v[0:1], s[0:1], v[146:147]
	v_mul_f64_e32 v[2:3], s[10:11], v[80:81]
	v_mul_f64_e32 v[6:7], s[24:25], v[80:81]
	v_mul_f64_e32 v[84:85], s[34:35], v[80:81]
	v_add_f64_e64 v[132:133], v[42:43], -v[74:75]
	v_mul_f64_e32 v[106:107], s[56:57], v[80:81]
	s_mov_b32 s26, 0x923c349f
	v_mul_f64_e32 v[4:5], s[10:11], v[90:91]
	v_mul_f64_e32 v[100:101], s[38:39], v[90:91]
	;; [unrolled: 1-line block ×3, first 2 shown]
	s_mov_b32 s27, 0xbfeec746
	v_add_f64_e32 v[122:123], v[40:41], v[72:73]
	s_mov_b32 s22, 0xc61f0d01
	s_mov_b32 s23, 0xbfd183b1
	v_add_f64_e64 v[152:153], v[40:41], -v[72:73]
	v_mul_f64_e32 v[88:89], s[34:35], v[90:91]
	v_add_f64_e32 v[142:143], v[42:43], v[74:75]
	v_add_f64_e64 v[166:167], v[46:47], -v[70:71]
	v_add_f64_e32 v[138:139], v[44:45], v[68:69]
	s_mov_b32 s28, 0x6ed5f1bb
	s_mov_b32 s29, 0xbfe348c8
	;; [unrolled: 1-line block ×4, first 2 shown]
	v_add_f64_e64 v[168:169], v[44:45], -v[68:69]
	v_mul_f64_e32 v[110:111], s[40:41], v[80:81]
	v_add_f64_e32 v[154:155], v[46:47], v[70:71]
	v_add_f64_e64 v[175:176], v[50:51], -v[66:67]
	s_mov_b32 s55, 0xbfe0d888
	s_mov_b32 s54, s56
	v_add_f64_e32 v[148:149], v[48:49], v[64:65]
	s_mov_b32 s30, 0x910ea3b9
	s_mov_b32 s31, 0xbfeb34fa
	v_add_f64_e64 v[177:178], v[48:49], -v[64:65]
	v_add_f64_e32 v[162:163], v[50:51], v[66:67]
	v_add_f64_e64 v[179:180], v[58:59], -v[62:63]
	v_add_f64_e32 v[158:159], v[56:57], v[60:61]
	s_mov_b32 s36, 0x7faef3
	s_mov_b32 s37, 0xbfef7484
	v_add_f64_e64 v[181:182], v[56:57], -v[60:61]
	s_clause 0x1
	scratch_store_b64 off, v[2:3], off offset:12
	scratch_store_b64 off, v[0:1], off offset:100
	v_fma_f64 v[0:1], v[134:135], s[6:7], v[0:1]
	v_fma_f64 v[2:3], v[76:77], s[14:15], v[2:3]
	v_add_f64_e32 v[170:171], v[58:59], v[62:63]
	v_mul_f64_e32 v[231:232], s[10:11], v[146:147]
	s_clause 0x1
	scratch_store_b64 off, v[4:5], off offset:20
	scratch_store_b64 off, v[100:101], off offset:364
	v_fma_f64 v[4:5], v[82:83], s[14:15], -v[4:5]
	v_mul_f64_e32 v[233:234], s[10:11], v[187:188]
	s_mov_b32 s47, 0x3feca52d
	s_mov_b32 s46, s18
	;; [unrolled: 1-line block ×4, first 2 shown]
	v_mul_f64_e32 v[235:236], s[18:19], v[146:147]
	v_mul_f64_e32 v[237:238], s[18:19], v[187:188]
	s_mov_b32 s45, 0x3fc7851a
	s_mov_b32 s44, s38
	;; [unrolled: 1-line block ×4, first 2 shown]
	v_mul_f64_e32 v[239:240], s[24:25], v[146:147]
	v_mul_f64_e32 v[136:137], s[48:49], v[152:153]
	;; [unrolled: 1-line block ×4, first 2 shown]
	v_fma_f64 v[100:101], v[82:83], s[36:37], -v[100:101]
	v_mul_f64_e32 v[150:151], s[42:43], v[130:131]
	v_mul_f64_e32 v[124:125], s[18:19], v[132:133]
	;; [unrolled: 1-line block ×5, first 2 shown]
	s_mov_b32 s51, 0x3fe9895b
	s_mov_b32 s50, s34
	v_mul_f64_e32 v[243:244], s[26:27], v[146:147]
	v_mul_f64_e32 v[116:117], s[50:51], v[175:176]
	;; [unrolled: 1-line block ×8, first 2 shown]
	v_add_f64_e32 v[0:1], v[8:9], v[0:1]
	v_mul_f64_e32 v[201:202], s[18:19], v[130:131]
	v_mul_f64_e32 v[191:192], s[38:39], v[132:133]
	;; [unrolled: 1-line block ×3, first 2 shown]
	s_mov_b32 s53, 0x3fefdd0d
	s_mov_b32 s52, s24
	v_mul_f64_e32 v[185:186], s[0:1], v[175:176]
	v_mul_f64_e32 v[211:212], s[52:53], v[166:167]
	;; [unrolled: 1-line block ×17, first 2 shown]
	scratch_store_b64 off, v[6:7], off offset:172 ; 8-byte Folded Spill
	v_fma_f64 v[6:7], v[76:77], s[20:21], v[6:7]
	scratch_store_b64 off, v[78:79], off offset:196 ; 8-byte Folded Spill
	v_fma_f64 v[78:79], v[82:83], s[20:21], -v[78:79]
	scratch_store_b64 off, v[110:111], off offset:420 ; 8-byte Folded Spill
	v_fma_f64 v[110:111], v[76:77], s[22:23], v[110:111]
	scratch_store_b64 off, v[84:85], off offset:204 ; 8-byte Folded Spill
	v_fma_f64 v[84:85], v[76:77], s[28:29], v[84:85]
	scratch_store_b64 off, v[88:89], off offset:276 ; 8-byte Folded Spill
	v_fma_f64 v[88:89], v[82:83], s[28:29], -v[88:89]
	scratch_store_b64 off, v[106:107], off offset:348 ; 8-byte Folded Spill
	v_fma_f64 v[106:107], v[76:77], s[30:31], v[106:107]
	v_fma_f64 v[108:109], v[82:83], s[30:31], -v[112:113]
	v_add_f64_e32 v[0:1], v[2:3], v[0:1]
	v_mul_f64_e32 v[2:3], s[0:1], v[187:188]
	v_fma_f64 v[128:129], v[82:83], s[22:23], -v[173:174]
	scratch_store_b64 off, v[2:3], off offset:164 ; 8-byte Folded Spill
	v_fma_f64 v[2:3], v[183:184], s[6:7], -v[2:3]
	s_delay_alu instid0(VALU_DEP_1) | instskip(NEXT) | instid1(VALU_DEP_1)
	v_add_f64_e32 v[2:3], v[10:11], v[2:3]
	v_add_f64_e32 v[2:3], v[4:5], v[2:3]
	v_mul_f64_e32 v[4:5], s[18:19], v[92:93]
	scratch_store_b64 off, v[4:5], off offset:36 ; 8-byte Folded Spill
	v_fma_f64 v[4:5], v[86:87], s[16:17], v[4:5]
	s_delay_alu instid0(VALU_DEP_1) | instskip(SKIP_3) | instid1(VALU_DEP_1)
	v_add_f64_e32 v[0:1], v[4:5], v[0:1]
	v_mul_f64_e32 v[4:5], s[18:19], v[118:119]
	scratch_store_b64 off, v[4:5], off offset:68 ; 8-byte Folded Spill
	v_fma_f64 v[4:5], v[114:115], s[16:17], -v[4:5]
	v_add_f64_e32 v[2:3], v[4:5], v[2:3]
	v_mul_f64_e32 v[4:5], s[24:25], v[120:121]
	scratch_store_b64 off, v[4:5], off offset:52 ; 8-byte Folded Spill
	v_fma_f64 v[4:5], v[94:95], s[20:21], v[4:5]
	s_delay_alu instid0(VALU_DEP_1) | instskip(SKIP_3) | instid1(VALU_DEP_1)
	v_add_f64_e32 v[0:1], v[4:5], v[0:1]
	v_mul_f64_e32 v[4:5], s[24:25], v[130:131]
	scratch_store_b64 off, v[4:5], off offset:92 ; 8-byte Folded Spill
	v_fma_f64 v[4:5], v[126:127], s[20:21], -v[4:5]
	;; [unrolled: 9-line block ×6, first 2 shown]
	v_add_f64_e32 v[2:3], v[4:5], v[2:3]
	v_fma_f64 v[4:5], v[134:135], s[14:15], v[231:232]
	s_delay_alu instid0(VALU_DEP_1) | instskip(NEXT) | instid1(VALU_DEP_1)
	v_add_f64_e32 v[4:5], v[8:9], v[4:5]
	v_add_f64_e32 v[4:5], v[6:7], v[4:5]
	v_fma_f64 v[6:7], v[183:184], s[14:15], -v[233:234]
	s_delay_alu instid0(VALU_DEP_1) | instskip(NEXT) | instid1(VALU_DEP_1)
	v_add_f64_e32 v[6:7], v[10:11], v[6:7]
	v_add_f64_e32 v[6:7], v[78:79], v[6:7]
	v_mul_f64_e32 v[78:79], s[34:35], v[92:93]
	scratch_store_b64 off, v[78:79], off offset:180 ; 8-byte Folded Spill
	v_fma_f64 v[78:79], v[86:87], s[28:29], v[78:79]
	s_delay_alu instid0(VALU_DEP_1) | instskip(SKIP_3) | instid1(VALU_DEP_1)
	v_add_f64_e32 v[4:5], v[78:79], v[4:5]
	v_mul_f64_e32 v[78:79], s[34:35], v[118:119]
	scratch_store_b64 off, v[78:79], off offset:212 ; 8-byte Folded Spill
	v_fma_f64 v[78:79], v[114:115], s[28:29], -v[78:79]
	v_add_f64_e32 v[6:7], v[78:79], v[6:7]
	v_mul_f64_e32 v[78:79], s[38:39], v[120:121]
	scratch_store_b64 off, v[78:79], off offset:188 ; 8-byte Folded Spill
	v_fma_f64 v[78:79], v[94:95], s[36:37], v[78:79]
	s_delay_alu instid0(VALU_DEP_1) | instskip(SKIP_3) | instid1(VALU_DEP_1)
	v_add_f64_e32 v[4:5], v[78:79], v[4:5]
	v_mul_f64_e32 v[78:79], s[38:39], v[130:131]
	scratch_store_b64 off, v[78:79], off offset:252 ; 8-byte Folded Spill
	v_fma_f64 v[78:79], v[126:127], s[36:37], -v[78:79]
	;; [unrolled: 9-line block ×6, first 2 shown]
	v_add_f64_e32 v[6:7], v[78:79], v[6:7]
	v_fma_f64 v[78:79], v[134:135], s[16:17], v[235:236]
	s_delay_alu instid0(VALU_DEP_1) | instskip(NEXT) | instid1(VALU_DEP_1)
	v_add_f64_e32 v[78:79], v[8:9], v[78:79]
	v_add_f64_e32 v[78:79], v[84:85], v[78:79]
	v_fma_f64 v[84:85], v[183:184], s[16:17], -v[237:238]
	s_delay_alu instid0(VALU_DEP_1) | instskip(NEXT) | instid1(VALU_DEP_1)
	v_add_f64_e32 v[84:85], v[10:11], v[84:85]
	v_add_f64_e32 v[84:85], v[88:89], v[84:85]
	v_mul_f64_e32 v[88:89], s[44:45], v[92:93]
	scratch_store_b64 off, v[88:89], off offset:244 ; 8-byte Folded Spill
	v_fma_f64 v[88:89], v[86:87], s[36:37], v[88:89]
	s_delay_alu instid0(VALU_DEP_1) | instskip(SKIP_3) | instid1(VALU_DEP_1)
	v_add_f64_e32 v[78:79], v[88:89], v[78:79]
	v_mul_f64_e32 v[88:89], s[44:45], v[118:119]
	scratch_store_b64 off, v[88:89], off offset:324 ; 8-byte Folded Spill
	v_fma_f64 v[88:89], v[114:115], s[36:37], -v[88:89]
	v_add_f64_e32 v[84:85], v[88:89], v[84:85]
	v_mul_f64_e32 v[88:89], s[40:41], v[120:121]
	scratch_store_b64 off, v[88:89], off offset:260 ; 8-byte Folded Spill
	v_fma_f64 v[88:89], v[94:95], s[22:23], v[88:89]
	s_delay_alu instid0(VALU_DEP_1) | instskip(SKIP_3) | instid1(VALU_DEP_1)
	v_add_f64_e32 v[78:79], v[88:89], v[78:79]
	v_mul_f64_e32 v[88:89], s[40:41], v[130:131]
	scratch_store_b64 off, v[88:89], off offset:388 ; 8-byte Folded Spill
	v_fma_f64 v[88:89], v[126:127], s[22:23], -v[88:89]
	v_add_f64_e32 v[84:85], v[88:89], v[84:85]
	v_mul_f64_e32 v[88:89], s[48:49], v[132:133]
	scratch_store_b64 off, v[88:89], off offset:372 ; 8-byte Folded Spill
	v_fma_f64 v[88:89], v[122:123], s[14:15], v[88:89]
	s_delay_alu instid0(VALU_DEP_1) | instskip(SKIP_1) | instid1(VALU_DEP_1)
	v_add_f64_e32 v[78:79], v[88:89], v[78:79]
	v_fma_f64 v[88:89], v[142:143], s[14:15], -v[136:137]
	v_add_f64_e32 v[84:85], v[88:89], v[84:85]
	v_mul_f64_e32 v[88:89], s[0:1], v[166:167]
	s_delay_alu instid0(VALU_DEP_1) | instskip(NEXT) | instid1(VALU_DEP_1)
	v_fma_f64 v[96:97], v[138:139], s[6:7], v[88:89]
	v_add_f64_e32 v[78:79], v[96:97], v[78:79]
	v_fma_f64 v[96:97], v[154:155], s[6:7], -v[193:194]
	s_delay_alu instid0(VALU_DEP_1) | instskip(SKIP_3) | instid1(VALU_DEP_1)
	v_add_f64_e32 v[84:85], v[96:97], v[84:85]
	v_mul_f64_e32 v[96:97], s[24:25], v[175:176]
	scratch_store_b64 off, v[96:97], off offset:340 ; 8-byte Folded Spill
	v_fma_f64 v[96:97], v[148:149], s[20:21], v[96:97]
	v_add_f64_e32 v[78:79], v[96:97], v[78:79]
	v_mul_f64_e32 v[96:97], s[24:25], v[177:178]
	scratch_store_b64 off, v[96:97], off offset:396 ; 8-byte Folded Spill
	v_fma_f64 v[96:97], v[162:163], s[20:21], -v[96:97]
	s_delay_alu instid0(VALU_DEP_1) | instskip(SKIP_3) | instid1(VALU_DEP_1)
	v_add_f64_e32 v[84:85], v[96:97], v[84:85]
	v_mul_f64_e32 v[96:97], s[54:55], v[179:180]
	scratch_store_b64 off, v[96:97], off offset:316 ; 8-byte Folded Spill
	v_fma_f64 v[96:97], v[158:159], s[30:31], v[96:97]
	v_add_f64_e32 v[96:97], v[96:97], v[78:79]
	v_mul_f64_e32 v[78:79], s[54:55], v[181:182]
	scratch_store_b64 off, v[78:79], off offset:404 ; 8-byte Folded Spill
	v_fma_f64 v[78:79], v[170:171], s[30:31], -v[78:79]
	s_delay_alu instid0(VALU_DEP_1) | instskip(SKIP_2) | instid1(VALU_DEP_2)
	v_add_f64_e32 v[98:99], v[78:79], v[84:85]
	v_fma_f64 v[78:79], v[134:135], s[20:21], v[239:240]
	v_mul_f64_e32 v[84:85], s[38:39], v[80:81]
	v_add_f64_e32 v[78:79], v[8:9], v[78:79]
	scratch_store_b64 off, v[84:85], off offset:284 ; 8-byte Folded Spill
	v_fma_f64 v[84:85], v[76:77], s[36:37], v[84:85]
	s_delay_alu instid0(VALU_DEP_1) | instskip(SKIP_1) | instid1(VALU_DEP_1)
	v_add_f64_e32 v[78:79], v[84:85], v[78:79]
	v_fma_f64 v[84:85], v[183:184], s[20:21], -v[241:242]
	v_add_f64_e32 v[84:85], v[10:11], v[84:85]
	s_delay_alu instid0(VALU_DEP_1) | instskip(SKIP_3) | instid1(VALU_DEP_1)
	v_add_f64_e32 v[100:101], v[100:101], v[84:85]
	v_mul_f64_e32 v[84:85], s[40:41], v[92:93]
	scratch_store_b64 off, v[84:85], off offset:332 ; 8-byte Folded Spill
	v_fma_f64 v[84:85], v[86:87], s[22:23], v[84:85]
	v_add_f64_e32 v[78:79], v[84:85], v[78:79]
	v_mul_f64_e32 v[84:85], s[40:41], v[118:119]
	s_delay_alu instid0(VALU_DEP_1) | instskip(NEXT) | instid1(VALU_DEP_1)
	v_fma_f64 v[102:103], v[114:115], s[22:23], -v[84:85]
	v_add_f64_e32 v[100:101], v[102:103], v[100:101]
	v_mul_f64_e32 v[102:103], s[42:43], v[120:121]
	scratch_store_b64 off, v[102:103], off offset:356 ; 8-byte Folded Spill
	v_fma_f64 v[102:103], v[94:95], s[6:7], v[102:103]
	s_delay_alu instid0(VALU_DEP_1) | instskip(SKIP_1) | instid1(VALU_DEP_1)
	v_add_f64_e32 v[78:79], v[102:103], v[78:79]
	v_fma_f64 v[102:103], v[126:127], s[6:7], -v[150:151]
	v_add_f64_e32 v[100:101], v[102:103], v[100:101]
	v_fma_f64 v[102:103], v[122:123], s[16:17], v[124:125]
	s_delay_alu instid0(VALU_DEP_1) | instskip(SKIP_1) | instid1(VALU_DEP_1)
	v_add_f64_e32 v[78:79], v[102:103], v[78:79]
	v_fma_f64 v[102:103], v[142:143], s[16:17], -v[197:198]
	v_add_f64_e32 v[100:101], v[102:103], v[100:101]
	;; [unrolled: 5-line block ×4, first 2 shown]
	v_mul_f64_e32 v[78:79], s[48:49], v[179:180]
	s_delay_alu instid0(VALU_DEP_1) | instskip(NEXT) | instid1(VALU_DEP_1)
	v_fma_f64 v[100:101], v[158:159], s[14:15], v[78:79]
	v_add_f64_e32 v[100:101], v[100:101], v[102:103]
	v_fma_f64 v[102:103], v[170:171], s[14:15], -v[144:145]
	s_delay_alu instid0(VALU_DEP_1) | instskip(SKIP_1) | instid1(VALU_DEP_1)
	v_add_f64_e32 v[102:103], v[102:103], v[104:105]
	v_fma_f64 v[104:105], v[134:135], s[22:23], v[243:244]
	v_add_f64_e32 v[104:105], v[8:9], v[104:105]
	s_delay_alu instid0(VALU_DEP_1) | instskip(SKIP_1) | instid1(VALU_DEP_1)
	v_add_f64_e32 v[104:105], v[106:107], v[104:105]
	v_fma_f64 v[106:107], v[183:184], s[22:23], -v[245:246]
	v_add_f64_e32 v[106:107], v[10:11], v[106:107]
	s_delay_alu instid0(VALU_DEP_1)
	v_add_f64_e32 v[106:107], v[108:109], v[106:107]
	v_mul_f64_e32 v[108:109], s[48:49], v[92:93]
	scratch_store_b64 off, v[108:109], off offset:412 ; 8-byte Folded Spill
	v_fma_f64 v[108:109], v[86:87], s[14:15], v[108:109]
	global_wb scope:SCOPE_SE
	s_wait_storecnt 0x0
	s_barrier_signal -1
	s_barrier_wait -1
	global_inv scope:SCOPE_SE
	v_add_f64_e32 v[104:105], v[108:109], v[104:105]
	v_fma_f64 v[108:109], v[114:115], s[14:15], -v[164:165]
	s_delay_alu instid0(VALU_DEP_1) | instskip(SKIP_1) | instid1(VALU_DEP_1)
	v_add_f64_e32 v[106:107], v[108:109], v[106:107]
	v_fma_f64 v[108:109], v[94:95], s[16:17], v[253:254]
	v_add_f64_e32 v[104:105], v[108:109], v[104:105]
	v_fma_f64 v[108:109], v[126:127], s[16:17], -v[201:202]
	s_delay_alu instid0(VALU_DEP_1) | instskip(SKIP_1) | instid1(VALU_DEP_1)
	v_add_f64_e32 v[106:107], v[108:109], v[106:107]
	v_fma_f64 v[108:109], v[122:123], s[36:37], v[191:192]
	;; [unrolled: 5-line block ×6, first 2 shown]
	v_add_f64_e32 v[108:109], v[8:9], v[108:109]
	s_delay_alu instid0(VALU_DEP_1) | instskip(SKIP_1) | instid1(VALU_DEP_1)
	v_add_f64_e32 v[108:109], v[110:111], v[108:109]
	v_fma_f64 v[110:111], v[183:184], s[28:29], -v[249:250]
	v_add_f64_e32 v[110:111], v[10:11], v[110:111]
	s_delay_alu instid0(VALU_DEP_1) | instskip(SKIP_1) | instid1(VALU_DEP_1)
	v_add_f64_e32 v[110:111], v[128:129], v[110:111]
	v_mul_f64_e32 v[128:129], s[0:1], v[92:93]
	v_fma_f64 v[140:141], v[86:87], s[6:7], v[128:129]
	s_delay_alu instid0(VALU_DEP_1) | instskip(SKIP_1) | instid1(VALU_DEP_1)
	v_add_f64_e32 v[108:109], v[140:141], v[108:109]
	v_fma_f64 v[140:141], v[114:115], s[6:7], -v[207:208]
	v_add_f64_e32 v[110:111], v[140:141], v[110:111]
	v_mul_f64_e32 v[140:141], s[54:55], v[120:121]
	s_delay_alu instid0(VALU_DEP_1) | instskip(NEXT) | instid1(VALU_DEP_1)
	v_fma_f64 v[195:196], v[94:95], s[30:31], v[140:141]
	v_add_f64_e32 v[108:109], v[195:196], v[108:109]
	v_fma_f64 v[195:196], v[126:127], s[30:31], -v[221:222]
	s_delay_alu instid0(VALU_DEP_1) | instskip(SKIP_1) | instid1(VALU_DEP_1)
	v_add_f64_e32 v[110:111], v[195:196], v[110:111]
	v_fma_f64 v[195:196], v[122:123], s[20:21], v[209:210]
	v_add_f64_e32 v[108:109], v[195:196], v[108:109]
	v_fma_f64 v[195:196], v[142:143], s[20:21], -v[225:226]
	s_delay_alu instid0(VALU_DEP_1) | instskip(SKIP_1) | instid1(VALU_DEP_1)
	v_add_f64_e32 v[110:111], v[195:196], v[110:111]
	;; [unrolled: 5-line block ×4, first 2 shown]
	v_mul_f64_e32 v[195:196], s[46:47], v[179:180]
	v_fma_f64 v[213:214], v[158:159], s[16:17], v[195:196]
	s_delay_alu instid0(VALU_DEP_1) | instskip(SKIP_1) | instid1(VALU_DEP_1)
	v_add_f64_e32 v[108:109], v[213:214], v[108:109]
	v_mul_f64_e32 v[213:214], s[46:47], v[181:182]
	v_fma_f64 v[251:252], v[170:171], s[16:17], -v[213:214]
	s_delay_alu instid0(VALU_DEP_1)
	v_add_f64_e32 v[110:111], v[251:252], v[110:111]
	s_and_saveexec_b32 s33, vcc_lo
	s_cbranch_execz .LBB0_7
; %bb.6:
	v_add_f64_e32 v[24:25], v[8:9], v[24:25]
	v_add_f64_e32 v[26:27], v[10:11], v[26:27]
	s_delay_alu instid0(VALU_DEP_2) | instskip(NEXT) | instid1(VALU_DEP_2)
	v_add_f64_e32 v[24:25], v[24:25], v[28:29]
	v_add_f64_e32 v[26:27], v[26:27], v[30:31]
	v_mul_f64_e32 v[28:29], s[22:23], v[183:184]
	v_mul_f64_e32 v[30:31], s[22:23], v[134:135]
	s_delay_alu instid0(VALU_DEP_4) | instskip(NEXT) | instid1(VALU_DEP_4)
	v_add_f64_e32 v[24:25], v[24:25], v[32:33]
	v_add_f64_e32 v[26:27], v[26:27], v[34:35]
	v_mul_f64_e32 v[32:33], s[20:21], v[183:184]
	v_add_f64_e32 v[28:29], v[245:246], v[28:29]
	v_mul_f64_e32 v[34:35], s[20:21], v[134:135]
	v_add_f64_e64 v[30:31], v[30:31], -v[243:244]
	v_add_f64_e32 v[24:25], v[24:25], v[36:37]
	v_add_f64_e32 v[26:27], v[26:27], v[38:39]
	;; [unrolled: 1-line block ×3, first 2 shown]
	v_mul_f64_e32 v[38:39], s[16:17], v[134:135]
	v_add_f64_e64 v[34:35], v[34:35], -v[239:240]
	v_mul_f64_e32 v[36:37], s[16:17], v[183:184]
	v_add_f64_e32 v[24:25], v[24:25], v[40:41]
	v_add_f64_e32 v[26:27], v[26:27], v[42:43]
	v_mul_f64_e32 v[42:43], s[14:15], v[134:135]
	v_add_f64_e64 v[38:39], v[38:39], -v[235:236]
	v_mul_f64_e32 v[40:41], s[14:15], v[183:184]
	v_add_f64_e32 v[36:37], v[237:238], v[36:37]
	v_add_f64_e32 v[24:25], v[24:25], v[44:45]
	v_add_f64_e32 v[26:27], v[26:27], v[46:47]
	scratch_load_b64 v[46:47], off, off offset:164 th:TH_LOAD_LU ; 8-byte Folded Reload
	v_mul_f64_e32 v[44:45], s[6:7], v[183:184]
	v_add_f64_e64 v[42:43], v[42:43], -v[231:232]
	v_add_f64_e32 v[40:41], v[233:234], v[40:41]
	v_add_f64_e32 v[24:25], v[24:25], v[48:49]
	;; [unrolled: 1-line block ×3, first 2 shown]
	v_mul_f64_e32 v[48:49], s[54:55], v[146:147]
	s_delay_alu instid0(VALU_DEP_3) | instskip(SKIP_3) | instid1(VALU_DEP_2)
	v_add_f64_e32 v[24:25], v[24:25], v[56:57]
	scratch_load_b64 v[56:57], off, off offset:100 th:TH_LOAD_LU ; 8-byte Folded Reload
	v_add_f64_e32 v[26:27], v[26:27], v[58:59]
	v_add_f64_e32 v[24:25], v[24:25], v[60:61]
	;; [unrolled: 1-line block ×3, first 2 shown]
	s_delay_alu instid0(VALU_DEP_2) | instskip(SKIP_1) | instid1(VALU_DEP_3)
	v_add_f64_e32 v[24:25], v[24:25], v[64:65]
	v_add_f64_e32 v[64:65], v[10:11], v[28:29]
	;; [unrolled: 1-line block ×4, first 2 shown]
	v_mul_f64_e32 v[32:33], s[6:7], v[82:83]
	v_add_f64_e32 v[66:67], v[8:9], v[30:31]
	v_add_f64_e32 v[30:31], v[8:9], v[34:35]
	v_mul_f64_e32 v[34:35], s[30:31], v[114:115]
	v_add_f64_e32 v[24:25], v[24:25], v[68:69]
	v_add_f64_e32 v[26:27], v[26:27], v[70:71]
	s_delay_alu instid0(VALU_DEP_2) | instskip(NEXT) | instid1(VALU_DEP_2)
	v_add_f64_e32 v[24:25], v[24:25], v[72:73]
	v_add_f64_e32 v[26:27], v[26:27], v[74:75]
	s_delay_alu instid0(VALU_DEP_2) | instskip(SKIP_1) | instid1(VALU_DEP_3)
	v_add_f64_e32 v[24:25], v[24:25], v[52:53]
	v_fma_f64 v[52:53], v[134:135], s[30:31], v[48:49]
	v_add_f64_e32 v[26:27], v[26:27], v[54:55]
	v_mul_f64_e32 v[54:55], s[6:7], v[134:135]
	v_fma_f64 v[48:49], v[134:135], s[30:31], -v[48:49]
	v_add_f64_e32 v[20:21], v[24:25], v[20:21]
	v_mul_f64_e32 v[24:25], s[28:29], v[183:184]
	v_add_f64_e32 v[22:23], v[26:27], v[22:23]
	v_mul_f64_e32 v[26:27], s[28:29], v[134:135]
	v_add_f64_e32 v[52:53], v[8:9], v[52:53]
	v_add_f64_e32 v[48:49], v[8:9], v[48:49]
	s_wait_loadcnt 0x1
	v_add_f64_e32 v[44:45], v[46:47], v[44:45]
	v_mul_f64_e32 v[46:47], s[38:39], v[146:147]
	v_mul_f64_e32 v[146:147], s[20:21], v[170:171]
	v_add_f64_e32 v[16:17], v[20:21], v[16:17]
	v_mul_f64_e32 v[20:21], s[30:31], v[183:184]
	v_add_f64_e32 v[18:19], v[22:23], v[18:19]
	v_add_f64_e64 v[26:27], v[26:27], -v[247:248]
	v_add_f64_e32 v[24:25], v[249:250], v[24:25]
	v_add_f64_e32 v[68:69], v[10:11], v[44:45]
	v_fma_f64 v[50:51], v[134:135], s[36:37], v[46:47]
	v_fma_f64 v[46:47], v[134:135], s[36:37], -v[46:47]
	v_add_f64_e32 v[12:13], v[16:17], v[12:13]
	v_mul_f64_e32 v[16:17], s[36:37], v[183:184]
	v_add_f64_e32 v[14:15], v[18:19], v[14:15]
	v_fma_f64 v[22:23], v[187:188], s[56:57], v[20:21]
	v_add_f64_e32 v[62:63], v[8:9], v[26:27]
	v_add_f64_e32 v[26:27], v[8:9], v[38:39]
	v_fma_f64 v[20:21], v[187:188], s[54:55], v[20:21]
	v_add_f64_e32 v[60:61], v[10:11], v[24:25]
	v_add_f64_e32 v[24:25], v[10:11], v[36:37]
	v_fma_f64 v[36:37], v[118:119], s[56:57], v[34:35]
	v_mul_f64_e32 v[183:184], s[52:53], v[179:180]
	s_wait_loadcnt 0x0
	v_add_f64_e64 v[54:55], v[54:55], -v[56:57]
	v_add_f64_e32 v[50:51], v[8:9], v[50:51]
	v_add_f64_e32 v[46:47], v[8:9], v[46:47]
	v_fma_f64 v[18:19], v[187:188], s[44:45], v[16:17]
	v_fma_f64 v[16:17], v[187:188], s[38:39], v[16:17]
	v_add_f64_e32 v[56:57], v[10:11], v[22:23]
	v_add_f64_e32 v[22:23], v[8:9], v[42:43]
	;; [unrolled: 1-line block ×5, first 2 shown]
	v_fma_f64 v[8:9], v[90:91], s[0:1], v[32:33]
	v_fma_f64 v[32:33], v[90:91], s[42:43], v[32:33]
	v_add_f64_e32 v[18:19], v[10:11], v[18:19]
	v_add_f64_e32 v[16:17], v[10:11], v[16:17]
	s_delay_alu instid0(VALU_DEP_2) | instskip(SKIP_1) | instid1(VALU_DEP_3)
	v_add_f64_e32 v[8:9], v[8:9], v[18:19]
	v_mul_f64_e32 v[18:19], s[42:43], v[80:81]
	v_add_f64_e32 v[16:17], v[32:33], v[16:17]
	v_fma_f64 v[32:33], v[118:119], s[54:55], v[34:35]
	v_fma_f64 v[34:35], v[158:159], s[20:21], -v[183:184]
	v_add_f64_e32 v[8:9], v[36:37], v[8:9]
	v_fma_f64 v[10:11], v[76:77], s[6:7], v[18:19]
	v_mul_f64_e32 v[36:37], s[54:55], v[92:93]
	v_fma_f64 v[18:19], v[76:77], s[6:7], -v[18:19]
	v_add_f64_e32 v[16:17], v[32:33], v[16:17]
	s_delay_alu instid0(VALU_DEP_4) | instskip(NEXT) | instid1(VALU_DEP_4)
	v_add_f64_e32 v[10:11], v[10:11], v[50:51]
	v_fma_f64 v[38:39], v[86:87], s[30:31], v[36:37]
	s_delay_alu instid0(VALU_DEP_4)
	v_add_f64_e32 v[18:19], v[18:19], v[46:47]
	v_fma_f64 v[32:33], v[86:87], s[30:31], -v[36:37]
	scratch_load_b64 v[36:37], off, off offset:300 th:TH_LOAD_LU ; 8-byte Folded Reload
	v_add_f64_e32 v[10:11], v[38:39], v[10:11]
	v_mul_f64_e32 v[38:39], s[14:15], v[126:127]
	v_add_f64_e32 v[18:19], v[32:33], v[18:19]
	s_delay_alu instid0(VALU_DEP_2)
	v_fma_f64 v[40:41], v[130:131], s[10:11], v[38:39]
	v_fma_f64 v[32:33], v[130:131], s[48:49], v[38:39]
	scratch_load_b64 v[38:39], off, off offset:252 th:TH_LOAD_LU ; 8-byte Folded Reload
	v_add_f64_e32 v[8:9], v[40:41], v[8:9]
	v_mul_f64_e32 v[40:41], s[48:49], v[120:121]
	v_add_f64_e32 v[16:17], v[32:33], v[16:17]
	s_delay_alu instid0(VALU_DEP_2)
	v_fma_f64 v[42:43], v[94:95], s[14:15], v[40:41]
	v_fma_f64 v[32:33], v[94:95], s[14:15], -v[40:41]
	scratch_load_b64 v[40:41], off, off offset:212 th:TH_LOAD_LU ; 8-byte Folded Reload
	v_add_f64_e32 v[10:11], v[42:43], v[10:11]
	v_mul_f64_e32 v[42:43], s[28:29], v[142:143]
	v_add_f64_e32 v[18:19], v[32:33], v[18:19]
	s_delay_alu instid0(VALU_DEP_2)
	v_fma_f64 v[44:45], v[152:153], s[50:51], v[42:43]
	v_fma_f64 v[32:33], v[152:153], s[34:35], v[42:43]
	scratch_load_b64 v[42:43], off, off offset:196 th:TH_LOAD_LU ; 8-byte Folded Reload
	v_add_f64_e32 v[8:9], v[44:45], v[8:9]
	v_mul_f64_e32 v[44:45], s[34:35], v[132:133]
	v_add_f64_e32 v[16:17], v[32:33], v[16:17]
	s_delay_alu instid0(VALU_DEP_2)
	v_fma_f64 v[50:51], v[122:123], s[28:29], v[44:45]
	v_fma_f64 v[32:33], v[122:123], s[28:29], -v[44:45]
	s_clause 0x1
	scratch_load_b64 v[44:45], off, off offset:292 th:TH_LOAD_LU
	scratch_load_b64 v[46:47], off, off offset:220 th:TH_LOAD_LU
	v_add_f64_e32 v[10:11], v[50:51], v[10:11]
	v_mul_f64_e32 v[50:51], s[16:17], v[154:155]
	v_add_f64_e32 v[18:19], v[32:33], v[18:19]
	s_delay_alu instid0(VALU_DEP_2)
	v_fma_f64 v[70:71], v[168:169], s[18:19], v[50:51]
	v_fma_f64 v[32:33], v[168:169], s[46:47], v[50:51]
	scratch_load_b64 v[50:51], off, off offset:172 th:TH_LOAD_LU ; 8-byte Folded Reload
	v_add_f64_e32 v[8:9], v[70:71], v[8:9]
	v_mul_f64_e32 v[70:71], s[46:47], v[166:167]
	v_add_f64_e32 v[16:17], v[32:33], v[16:17]
	s_delay_alu instid0(VALU_DEP_2)
	v_fma_f64 v[72:73], v[138:139], s[16:17], v[70:71]
	v_fma_f64 v[32:33], v[138:139], s[16:17], -v[70:71]
	scratch_load_b64 v[70:71], off, off offset:180 th:TH_LOAD_LU ; 8-byte Folded Reload
	v_add_f64_e32 v[10:11], v[72:73], v[10:11]
	v_mul_f64_e32 v[72:73], s[22:23], v[162:163]
	v_add_f64_e32 v[18:19], v[32:33], v[18:19]
	s_delay_alu instid0(VALU_DEP_2) | instskip(SKIP_1) | instid1(VALU_DEP_2)
	v_fma_f64 v[74:75], v[177:178], s[40:41], v[72:73]
	v_fma_f64 v[32:33], v[177:178], s[26:27], v[72:73]
	v_add_f64_e32 v[8:9], v[74:75], v[8:9]
	v_mul_f64_e32 v[74:75], s[26:27], v[175:176]
	s_delay_alu instid0(VALU_DEP_3) | instskip(NEXT) | instid1(VALU_DEP_2)
	v_add_f64_e32 v[16:17], v[32:33], v[16:17]
	v_fma_f64 v[32:33], v[148:149], s[22:23], -v[74:75]
	v_fma_f64 v[134:135], v[148:149], s[22:23], v[74:75]
	s_delay_alu instid0(VALU_DEP_2) | instskip(SKIP_1) | instid1(VALU_DEP_3)
	v_add_f64_e32 v[32:33], v[32:33], v[18:19]
	v_fma_f64 v[18:19], v[181:182], s[52:53], v[146:147]
	v_add_f64_e32 v[134:135], v[134:135], v[10:11]
	v_fma_f64 v[10:11], v[181:182], s[24:25], v[146:147]
	s_delay_alu instid0(VALU_DEP_3)
	v_add_f64_e32 v[18:19], v[18:19], v[16:17]
	v_add_f64_e32 v[16:17], v[34:35], v[32:33]
	scratch_load_b64 v[34:35], off, off offset:380 th:TH_LOAD_LU ; 8-byte Folded Reload
	v_mul_f64_e32 v[32:33], s[22:23], v[154:155]
	v_add_f64_e32 v[10:11], v[10:11], v[8:9]
	v_fma_f64 v[8:9], v[158:159], s[20:21], v[183:184]
	s_delay_alu instid0(VALU_DEP_1) | instskip(SKIP_1) | instid1(VALU_DEP_4)
	v_add_f64_e32 v[8:9], v[8:9], v[134:135]
	s_wait_loadcnt 0x0
	v_add_f64_e32 v[32:33], v[34:35], v[32:33]
	v_mul_f64_e32 v[34:35], s[30:31], v[142:143]
	s_delay_alu instid0(VALU_DEP_1) | instskip(SKIP_1) | instid1(VALU_DEP_1)
	v_add_f64_e32 v[34:35], v[36:37], v[34:35]
	v_mul_f64_e32 v[36:37], s[36:37], v[126:127]
	v_add_f64_e32 v[36:37], v[38:39], v[36:37]
	v_mul_f64_e32 v[38:39], s[28:29], v[114:115]
	s_delay_alu instid0(VALU_DEP_1) | instskip(SKIP_1) | instid1(VALU_DEP_1)
	v_add_f64_e32 v[38:39], v[40:41], v[38:39]
	v_mul_f64_e32 v[40:41], s[20:21], v[82:83]
	v_add_f64_e32 v[40:41], v[42:43], v[40:41]
	v_mul_f64_e32 v[42:43], s[22:23], v[138:139]
	s_delay_alu instid0(VALU_DEP_2) | instskip(NEXT) | instid1(VALU_DEP_2)
	v_add_f64_e32 v[20:21], v[40:41], v[20:21]
	v_add_f64_e64 v[42:43], v[42:43], -v[44:45]
	v_mul_f64_e32 v[44:45], s[30:31], v[122:123]
	v_mul_f64_e32 v[40:41], s[36:37], v[94:95]
	s_delay_alu instid0(VALU_DEP_4) | instskip(SKIP_1) | instid1(VALU_DEP_4)
	v_add_f64_e32 v[20:21], v[38:39], v[20:21]
	v_mul_f64_e32 v[38:39], s[16:17], v[162:163]
	v_add_f64_e64 v[44:45], v[44:45], -v[46:47]
	v_mul_f64_e32 v[46:47], s[20:21], v[76:77]
	s_delay_alu instid0(VALU_DEP_4) | instskip(SKIP_1) | instid1(VALU_DEP_3)
	v_add_f64_e32 v[20:21], v[36:37], v[20:21]
	v_mul_f64_e32 v[36:37], s[16:17], v[148:149]
	v_add_f64_e64 v[46:47], v[46:47], -v[50:51]
	v_mul_f64_e32 v[50:51], s[28:29], v[86:87]
	s_delay_alu instid0(VALU_DEP_4) | instskip(SKIP_1) | instid1(VALU_DEP_4)
	v_add_f64_e32 v[20:21], v[34:35], v[20:21]
	v_mul_f64_e32 v[34:35], s[6:7], v[170:171]
	v_add_f64_e32 v[22:23], v[46:47], v[22:23]
	scratch_load_b64 v[46:47], off, off offset:188 th:TH_LOAD_LU ; 8-byte Folded Reload
	v_add_f64_e64 v[50:51], v[50:51], -v[70:71]
	scratch_load_b64 v[70:71], off, off offset:244 th:TH_LOAD_LU ; 8-byte Folded Reload
	v_add_f64_e32 v[20:21], v[32:33], v[20:21]
	v_mul_f64_e32 v[32:33], s[6:7], v[158:159]
	v_add_f64_e32 v[22:23], v[50:51], v[22:23]
	scratch_load_b64 v[50:51], off, off offset:204 th:TH_LOAD_LU ; 8-byte Folded Reload
	s_wait_loadcnt 0x2
	v_add_f64_e64 v[40:41], v[40:41], -v[46:47]
	scratch_load_b64 v[46:47], off, off offset:268 th:TH_LOAD_LU ; 8-byte Folded Reload
	v_add_f64_e32 v[22:23], v[40:41], v[22:23]
	scratch_load_b64 v[40:41], off, off offset:228 th:TH_LOAD_LU ; 8-byte Folded Reload
	v_add_f64_e32 v[22:23], v[44:45], v[22:23]
	v_mul_f64_e32 v[44:45], s[14:15], v[122:123]
	s_delay_alu instid0(VALU_DEP_2)
	v_add_f64_e32 v[22:23], v[42:43], v[22:23]
	scratch_load_b64 v[42:43], off, off offset:276 th:TH_LOAD_LU ; 8-byte Folded Reload
	s_wait_loadcnt 0x2
	v_add_f64_e32 v[38:39], v[46:47], v[38:39]
	scratch_load_b64 v[46:47], off, off offset:372 th:TH_LOAD_LU ; 8-byte Folded Reload
	v_add_f64_e32 v[20:21], v[38:39], v[20:21]
	scratch_load_b64 v[38:39], off, off offset:388 th:TH_LOAD_LU ; 8-byte Folded Reload
	s_wait_loadcnt 0x1
	v_add_f64_e64 v[44:45], v[44:45], -v[46:47]
	v_mul_f64_e32 v[46:47], s[28:29], v[76:77]
	s_delay_alu instid0(VALU_DEP_1) | instskip(SKIP_1) | instid1(VALU_DEP_2)
	v_add_f64_e64 v[46:47], v[46:47], -v[50:51]
	v_mul_f64_e32 v[50:51], s[36:37], v[86:87]
	v_add_f64_e32 v[26:27], v[46:47], v[26:27]
	s_delay_alu instid0(VALU_DEP_2)
	v_add_f64_e64 v[50:51], v[50:51], -v[70:71]
	s_clause 0x1
	scratch_load_b64 v[46:47], off, off offset:260 th:TH_LOAD_LU
	scratch_load_b64 v[70:71], off, off offset:332 th:TH_LOAD_LU
	v_add_f64_e32 v[26:27], v[50:51], v[26:27]
	scratch_load_b64 v[50:51], off, off offset:284 th:TH_LOAD_LU ; 8-byte Folded Reload
	v_add_f64_e64 v[36:37], v[36:37], -v[40:41]
	scratch_load_b64 v[40:41], off, off offset:308 th:TH_LOAD_LU ; 8-byte Folded Reload
	v_add_f64_e32 v[36:37], v[36:37], v[22:23]
	s_wait_loadcnt 0x0
	v_add_f64_e32 v[34:35], v[40:41], v[34:35]
	scratch_load_b64 v[40:41], off, off offset:236 th:TH_LOAD_LU ; 8-byte Folded Reload
	v_add_f64_e32 v[22:23], v[34:35], v[20:21]
	v_mul_f64_e32 v[34:35], s[14:15], v[142:143]
	s_delay_alu instid0(VALU_DEP_1)
	v_add_f64_e32 v[34:35], v[136:137], v[34:35]
	s_wait_loadcnt 0x0
	v_add_f64_e64 v[32:33], v[32:33], -v[40:41]
	scratch_load_b64 v[40:41], off, off offset:324 th:TH_LOAD_LU ; 8-byte Folded Reload
	v_add_f64_e32 v[20:21], v[32:33], v[36:37]
	v_mul_f64_e32 v[36:37], s[22:23], v[126:127]
	v_mul_f64_e32 v[32:33], s[6:7], v[154:155]
	s_delay_alu instid0(VALU_DEP_2) | instskip(SKIP_1) | instid1(VALU_DEP_3)
	v_add_f64_e32 v[36:37], v[38:39], v[36:37]
	v_mul_f64_e32 v[38:39], s[36:37], v[114:115]
	v_add_f64_e32 v[32:33], v[193:194], v[32:33]
	s_wait_loadcnt 0x0
	s_delay_alu instid0(VALU_DEP_2) | instskip(SKIP_1) | instid1(VALU_DEP_1)
	v_add_f64_e32 v[38:39], v[40:41], v[38:39]
	v_mul_f64_e32 v[40:41], s[28:29], v[82:83]
	v_add_f64_e32 v[40:41], v[42:43], v[40:41]
	v_mul_f64_e32 v[42:43], s[6:7], v[138:139]
	s_delay_alu instid0(VALU_DEP_2) | instskip(SKIP_1) | instid1(VALU_DEP_3)
	v_add_f64_e32 v[24:25], v[40:41], v[24:25]
	v_mul_f64_e32 v[40:41], s[22:23], v[94:95]
	v_add_f64_e64 v[42:43], v[42:43], -v[88:89]
	s_delay_alu instid0(VALU_DEP_3) | instskip(NEXT) | instid1(VALU_DEP_3)
	v_add_f64_e32 v[24:25], v[38:39], v[24:25]
	v_add_f64_e64 v[40:41], v[40:41], -v[46:47]
	scratch_load_b64 v[46:47], off, off offset:396 th:TH_LOAD_LU ; 8-byte Folded Reload
	v_mul_f64_e32 v[38:39], s[20:21], v[162:163]
	v_add_f64_e32 v[24:25], v[36:37], v[24:25]
	v_add_f64_e32 v[26:27], v[40:41], v[26:27]
	scratch_load_b64 v[40:41], off, off offset:340 th:TH_LOAD_LU ; 8-byte Folded Reload
	v_mul_f64_e32 v[36:37], s[20:21], v[148:149]
	v_add_f64_e32 v[24:25], v[34:35], v[24:25]
	v_add_f64_e32 v[26:27], v[44:45], v[26:27]
	v_mul_f64_e32 v[34:35], s[30:31], v[170:171]
	v_mul_f64_e32 v[44:45], s[16:17], v[122:123]
	s_delay_alu instid0(VALU_DEP_4) | instskip(NEXT) | instid1(VALU_DEP_4)
	v_add_f64_e32 v[24:25], v[32:33], v[24:25]
	v_add_f64_e32 v[26:27], v[42:43], v[26:27]
	scratch_load_b64 v[42:43], off, off offset:364 th:TH_LOAD_LU ; 8-byte Folded Reload
	v_mul_f64_e32 v[32:33], s[30:31], v[158:159]
	v_add_f64_e64 v[44:45], v[44:45], -v[124:125]
	s_wait_loadcnt 0x2
	v_add_f64_e32 v[38:39], v[46:47], v[38:39]
	v_mul_f64_e32 v[46:47], s[36:37], v[76:77]
	s_delay_alu instid0(VALU_DEP_2) | instskip(NEXT) | instid1(VALU_DEP_2)
	v_add_f64_e32 v[24:25], v[38:39], v[24:25]
	v_add_f64_e64 v[46:47], v[46:47], -v[50:51]
	v_mul_f64_e32 v[50:51], s[22:23], v[86:87]
	v_mul_f64_e32 v[38:39], s[22:23], v[114:115]
	s_delay_alu instid0(VALU_DEP_3) | instskip(NEXT) | instid1(VALU_DEP_3)
	v_add_f64_e32 v[30:31], v[46:47], v[30:31]
	v_add_f64_e64 v[50:51], v[50:51], -v[70:71]
	s_clause 0x1
	scratch_load_b64 v[46:47], off, off offset:356 th:TH_LOAD_LU
	scratch_load_b64 v[70:71], off, off offset:412 th:TH_LOAD_LU
	s_wait_loadcnt 0x3
	v_add_f64_e64 v[36:37], v[36:37], -v[40:41]
	scratch_load_b64 v[40:41], off, off offset:404 th:TH_LOAD_LU ; 8-byte Folded Reload
	v_add_f64_e32 v[38:39], v[84:85], v[38:39]
	v_mul_f64_e32 v[84:85], s[22:23], v[170:171]
	v_add_f64_e32 v[30:31], v[50:51], v[30:31]
	scratch_load_b64 v[50:51], off, off offset:348 th:TH_LOAD_LU ; 8-byte Folded Reload
	v_add_f64_e32 v[36:37], v[36:37], v[26:27]
	s_wait_loadcnt 0x1
	v_add_f64_e32 v[34:35], v[40:41], v[34:35]
	scratch_load_b64 v[40:41], off, off offset:316 th:TH_LOAD_LU ; 8-byte Folded Reload
	v_add_f64_e32 v[26:27], v[34:35], v[24:25]
	v_mul_f64_e32 v[34:35], s[16:17], v[142:143]
	s_delay_alu instid0(VALU_DEP_1) | instskip(SKIP_3) | instid1(VALU_DEP_2)
	v_add_f64_e32 v[34:35], v[197:198], v[34:35]
	s_wait_loadcnt 0x0
	v_add_f64_e64 v[32:33], v[32:33], -v[40:41]
	v_mul_f64_e32 v[40:41], s[36:37], v[82:83]
	v_add_f64_e32 v[24:25], v[32:33], v[36:37]
	s_delay_alu instid0(VALU_DEP_2) | instskip(SKIP_3) | instid1(VALU_DEP_4)
	v_add_f64_e32 v[40:41], v[42:43], v[40:41]
	v_mul_f64_e32 v[36:37], s[6:7], v[126:127]
	v_mul_f64_e32 v[32:33], s[30:31], v[154:155]
	;; [unrolled: 1-line block ×3, first 2 shown]
	v_add_f64_e32 v[28:29], v[40:41], v[28:29]
	v_mul_f64_e32 v[40:41], s[6:7], v[94:95]
	v_add_f64_e32 v[36:37], v[150:151], v[36:37]
	v_add_f64_e32 v[32:33], v[215:216], v[32:33]
	v_add_f64_e64 v[42:43], v[42:43], -v[189:190]
	v_add_f64_e32 v[28:29], v[38:39], v[28:29]
	v_add_f64_e64 v[40:41], v[40:41], -v[46:47]
	v_mul_f64_e32 v[46:47], s[30:31], v[76:77]
	v_mul_f64_e32 v[38:39], s[28:29], v[162:163]
	s_delay_alu instid0(VALU_DEP_4) | instskip(NEXT) | instid1(VALU_DEP_4)
	v_add_f64_e32 v[28:29], v[36:37], v[28:29]
	v_add_f64_e32 v[30:31], v[40:41], v[30:31]
	s_delay_alu instid0(VALU_DEP_4)
	v_add_f64_e64 v[46:47], v[46:47], -v[50:51]
	v_mul_f64_e32 v[36:37], s[28:29], v[148:149]
	v_add_f64_e32 v[38:39], v[156:157], v[38:39]
	v_mul_f64_e32 v[40:41], s[30:31], v[82:83]
	v_mul_f64_e32 v[50:51], s[14:15], v[86:87]
	v_add_f64_e32 v[28:29], v[34:35], v[28:29]
	v_add_f64_e32 v[30:31], v[44:45], v[30:31]
	;; [unrolled: 1-line block ×3, first 2 shown]
	scratch_load_b64 v[66:67], off, off offset:420 th:TH_LOAD_LU ; 8-byte Folded Reload
	v_add_f64_e64 v[36:37], v[36:37], -v[116:117]
	v_mul_f64_e32 v[34:35], s[14:15], v[170:171]
	v_add_f64_e32 v[40:41], v[112:113], v[40:41]
	v_add_f64_e64 v[50:51], v[50:51], -v[70:71]
	v_mul_f64_e32 v[44:45], s[36:37], v[122:123]
	v_add_f64_e32 v[28:29], v[32:33], v[28:29]
	v_add_f64_e32 v[30:31], v[42:43], v[30:31]
	v_mul_f64_e32 v[32:33], s[14:15], v[158:159]
	v_mul_f64_e32 v[42:43], s[20:21], v[138:139]
	v_add_f64_e32 v[34:35], v[144:145], v[34:35]
	v_add_f64_e32 v[40:41], v[40:41], v[64:65]
	v_mul_f64_e32 v[64:65], s[16:17], v[94:95]
	v_add_f64_e64 v[44:45], v[44:45], -v[191:192]
	v_add_f64_e32 v[28:29], v[38:39], v[28:29]
	v_add_f64_e32 v[36:37], v[36:37], v[30:31]
	v_add_f64_e64 v[32:33], v[32:33], -v[78:79]
	v_mul_f64_e32 v[38:39], s[14:15], v[114:115]
	v_add_f64_e64 v[42:43], v[42:43], -v[211:212]
	v_add_f64_e64 v[64:65], v[64:65], -v[253:254]
	v_add_f64_e32 v[30:31], v[34:35], v[28:29]
	v_mul_f64_e32 v[34:35], s[36:37], v[142:143]
	v_add_f64_e32 v[28:29], v[32:33], v[36:37]
	v_mul_f64_e32 v[36:37], s[16:17], v[126:127]
	;; [unrolled: 2-line block ×3, first 2 shown]
	v_add_f64_e32 v[34:35], v[219:220], v[34:35]
	s_delay_alu instid0(VALU_DEP_4) | instskip(NEXT) | instid1(VALU_DEP_4)
	v_add_f64_e32 v[36:37], v[201:202], v[36:37]
	v_add_f64_e32 v[38:39], v[38:39], v[40:41]
	;; [unrolled: 1-line block ×4, first 2 shown]
	v_mul_f64_e32 v[46:47], s[6:7], v[162:163]
	v_mul_f64_e32 v[50:51], s[20:21], v[122:123]
	v_add_f64_e32 v[36:37], v[36:37], v[38:39]
	v_add_f64_e32 v[38:39], v[64:65], v[40:41]
	v_mul_f64_e32 v[40:41], s[6:7], v[148:149]
	v_add_f64_e32 v[46:47], v[203:204], v[46:47]
	v_mul_f64_e32 v[64:65], s[22:23], v[76:77]
	v_add_f64_e64 v[50:51], v[50:51], -v[209:210]
	v_add_f64_e32 v[34:35], v[34:35], v[36:37]
	v_add_f64_e32 v[36:37], v[44:45], v[38:39]
	v_add_f64_e64 v[40:41], v[40:41], -v[185:186]
	v_mul_f64_e32 v[38:39], s[28:29], v[170:171]
	v_mul_f64_e32 v[44:45], s[22:23], v[82:83]
	v_add_f64_e32 v[32:33], v[32:33], v[34:35]
	v_add_f64_e32 v[34:35], v[42:43], v[36:37]
	v_mul_f64_e32 v[36:37], s[28:29], v[158:159]
	v_add_f64_e32 v[38:39], v[199:200], v[38:39]
	v_mul_f64_e32 v[42:43], s[6:7], v[114:115]
	v_add_f64_e32 v[44:45], v[173:174], v[44:45]
	v_add_f64_e32 v[32:33], v[46:47], v[32:33]
	v_add_f64_e32 v[40:41], v[40:41], v[34:35]
	v_add_f64_e64 v[36:37], v[36:37], -v[160:161]
	v_mul_f64_e32 v[46:47], s[14:15], v[138:139]
	v_add_f64_e32 v[42:43], v[207:208], v[42:43]
	v_add_f64_e32 v[44:45], v[44:45], v[60:61]
	s_wait_loadcnt 0x0
	v_add_f64_e64 v[64:65], v[64:65], -v[66:67]
	v_mul_f64_e32 v[66:67], s[6:7], v[86:87]
	v_add_f64_e32 v[34:35], v[38:39], v[32:33]
	v_mul_f64_e32 v[38:39], s[20:21], v[142:143]
	v_add_f64_e32 v[32:33], v[36:37], v[40:41]
	v_mul_f64_e32 v[40:41], s[30:31], v[126:127]
	v_mul_f64_e32 v[36:37], s[14:15], v[154:155]
	v_add_f64_e32 v[42:43], v[42:43], v[44:45]
	v_add_f64_e64 v[46:47], v[46:47], -v[223:224]
	v_add_f64_e32 v[60:61], v[64:65], v[62:63]
	v_add_f64_e64 v[66:67], v[66:67], -v[128:129]
	v_mul_f64_e32 v[62:63], s[30:31], v[94:95]
	v_add_f64_e32 v[38:39], v[225:226], v[38:39]
	v_add_f64_e32 v[40:41], v[221:222], v[40:41]
	;; [unrolled: 1-line block ×4, first 2 shown]
	v_add_f64_e64 v[62:63], v[62:63], -v[140:141]
	v_mul_f64_e32 v[60:61], s[36:37], v[162:163]
	v_add_f64_e32 v[40:41], v[40:41], v[42:43]
	s_delay_alu instid0(VALU_DEP_3) | instskip(SKIP_1) | instid1(VALU_DEP_4)
	v_add_f64_e32 v[42:43], v[62:63], v[44:45]
	v_mul_f64_e32 v[44:45], s[36:37], v[148:149]
	v_add_f64_e32 v[60:61], v[217:218], v[60:61]
	s_delay_alu instid0(VALU_DEP_4) | instskip(NEXT) | instid1(VALU_DEP_4)
	v_add_f64_e32 v[38:39], v[38:39], v[40:41]
	v_add_f64_e32 v[40:41], v[50:51], v[42:43]
	s_delay_alu instid0(VALU_DEP_4) | instskip(SKIP_1) | instid1(VALU_DEP_4)
	v_add_f64_e64 v[44:45], v[44:45], -v[205:206]
	v_mul_f64_e32 v[42:43], s[16:17], v[170:171]
	v_add_f64_e32 v[36:37], v[36:37], v[38:39]
	s_delay_alu instid0(VALU_DEP_4) | instskip(SKIP_1) | instid1(VALU_DEP_4)
	v_add_f64_e32 v[38:39], v[46:47], v[40:41]
	v_mul_f64_e32 v[40:41], s[16:17], v[158:159]
	v_add_f64_e32 v[42:43], v[213:214], v[42:43]
	v_mul_f64_e32 v[46:47], s[46:47], v[80:81]
	v_mul_f64_e32 v[80:81], s[26:27], v[179:180]
	v_add_f64_e32 v[36:37], v[60:61], v[36:37]
	v_add_f64_e32 v[44:45], v[44:45], v[38:39]
	v_add_f64_e64 v[40:41], v[40:41], -v[195:196]
	s_delay_alu instid0(VALU_DEP_3) | instskip(SKIP_2) | instid1(VALU_DEP_4)
	v_add_f64_e32 v[38:39], v[42:43], v[36:37]
	v_fma_f64 v[42:43], v[76:77], s[16:17], -v[46:47]
	v_fma_f64 v[46:47], v[76:77], s[16:17], v[46:47]
	v_add_f64_e32 v[36:37], v[40:41], v[44:45]
	v_mul_f64_e32 v[44:45], s[16:17], v[82:83]
	s_delay_alu instid0(VALU_DEP_4)
	v_add_f64_e32 v[42:43], v[42:43], v[48:49]
	v_mul_f64_e32 v[48:49], s[20:21], v[114:115]
	v_add_f64_e32 v[46:47], v[46:47], v[52:53]
	scratch_load_b64 v[52:53], off, off offset:116 th:TH_LOAD_LU ; 8-byte Folded Reload
	v_fma_f64 v[40:41], v[90:91], s[46:47], v[44:45]
	v_fma_f64 v[44:45], v[90:91], s[18:19], v[44:45]
	;; [unrolled: 1-line block ×4, first 2 shown]
	s_delay_alu instid0(VALU_DEP_4) | instskip(NEXT) | instid1(VALU_DEP_4)
	v_add_f64_e32 v[40:41], v[40:41], v[58:59]
	v_add_f64_e32 v[44:45], v[44:45], v[56:57]
	scratch_load_b64 v[56:57], off, off offset:92 th:TH_LOAD_LU ; 8-byte Folded Reload
	v_add_f64_e32 v[40:41], v[50:51], v[40:41]
	v_mul_f64_e32 v[50:51], s[24:25], v[92:93]
	v_add_f64_e32 v[44:45], v[48:49], v[44:45]
	s_delay_alu instid0(VALU_DEP_2) | instskip(SKIP_2) | instid1(VALU_DEP_3)
	v_fma_f64 v[58:59], v[86:87], s[20:21], -v[50:51]
	v_fma_f64 v[48:49], v[86:87], s[20:21], v[50:51]
	v_fma_f64 v[50:51], v[158:159], s[22:23], v[80:81]
	v_add_f64_e32 v[42:43], v[58:59], v[42:43]
	v_mul_f64_e32 v[58:59], s[28:29], v[126:127]
	s_delay_alu instid0(VALU_DEP_4) | instskip(NEXT) | instid1(VALU_DEP_2)
	v_add_f64_e32 v[46:47], v[48:49], v[46:47]
	v_fma_f64 v[60:61], v[130:131], s[50:51], v[58:59]
	v_fma_f64 v[58:59], v[130:131], s[34:35], v[58:59]
	s_delay_alu instid0(VALU_DEP_2) | instskip(SKIP_1) | instid1(VALU_DEP_3)
	v_add_f64_e32 v[40:41], v[60:61], v[40:41]
	v_mul_f64_e32 v[60:61], s[50:51], v[120:121]
	v_add_f64_e32 v[44:45], v[58:59], v[44:45]
	scratch_load_b64 v[58:59], off, off offset:68 th:TH_LOAD_LU ; 8-byte Folded Reload
	v_fma_f64 v[62:63], v[94:95], s[28:29], -v[60:61]
	v_fma_f64 v[48:49], v[94:95], s[28:29], v[60:61]
	scratch_load_b64 v[60:61], off, off offset:20 th:TH_LOAD_LU ; 8-byte Folded Reload
	v_add_f64_e32 v[42:43], v[62:63], v[42:43]
	v_mul_f64_e32 v[62:63], s[6:7], v[142:143]
	v_add_f64_e32 v[46:47], v[48:49], v[46:47]
	s_delay_alu instid0(VALU_DEP_2) | instskip(SKIP_1) | instid1(VALU_DEP_2)
	v_fma_f64 v[64:65], v[152:153], s[0:1], v[62:63]
	v_fma_f64 v[62:63], v[152:153], s[42:43], v[62:63]
	v_add_f64_e32 v[40:41], v[64:65], v[40:41]
	v_mul_f64_e32 v[64:65], s[0:1], v[132:133]
	s_delay_alu instid0(VALU_DEP_3) | instskip(SKIP_3) | instid1(VALU_DEP_2)
	v_add_f64_e32 v[44:45], v[62:63], v[44:45]
	scratch_load_b64 v[62:63], off, off offset:108 th:TH_LOAD_LU ; 8-byte Folded Reload
	v_fma_f64 v[66:67], v[122:123], s[6:7], -v[64:65]
	v_fma_f64 v[48:49], v[122:123], s[6:7], v[64:65]
	v_add_f64_e32 v[42:43], v[66:67], v[42:43]
	v_mul_f64_e32 v[66:67], s[36:37], v[154:155]
	s_delay_alu instid0(VALU_DEP_3) | instskip(NEXT) | instid1(VALU_DEP_2)
	v_add_f64_e32 v[46:47], v[48:49], v[46:47]
	v_fma_f64 v[70:71], v[168:169], s[38:39], v[66:67]
	v_fma_f64 v[66:67], v[168:169], s[44:45], v[66:67]
	s_delay_alu instid0(VALU_DEP_2) | instskip(SKIP_1) | instid1(VALU_DEP_3)
	v_add_f64_e32 v[40:41], v[70:71], v[40:41]
	v_mul_f64_e32 v[70:71], s[38:39], v[166:167]
	v_add_f64_e32 v[44:45], v[66:67], v[44:45]
	scratch_load_b64 v[66:67], off, off offset:36 th:TH_LOAD_LU ; 8-byte Folded Reload
	v_fma_f64 v[72:73], v[138:139], s[36:37], -v[70:71]
	v_fma_f64 v[48:49], v[138:139], s[36:37], v[70:71]
	s_clause 0x1
	scratch_load_b64 v[70:71], off, off offset:52 th:TH_LOAD_LU
	scratch_load_b64 v[64:65], off, off offset:12 th:TH_LOAD_LU
	v_add_f64_e32 v[42:43], v[72:73], v[42:43]
	v_mul_f64_e32 v[72:73], s[14:15], v[162:163]
	v_add_f64_e32 v[46:47], v[48:49], v[46:47]
	s_delay_alu instid0(VALU_DEP_2) | instskip(SKIP_1) | instid1(VALU_DEP_2)
	v_fma_f64 v[74:75], v[177:178], s[48:49], v[72:73]
	v_fma_f64 v[72:73], v[177:178], s[10:11], v[72:73]
	v_add_f64_e32 v[40:41], v[74:75], v[40:41]
	v_mul_f64_e32 v[74:75], s[48:49], v[175:176]
	s_delay_alu instid0(VALU_DEP_3) | instskip(NEXT) | instid1(VALU_DEP_2)
	v_add_f64_e32 v[44:45], v[72:73], v[44:45]
	v_fma_f64 v[78:79], v[148:149], s[14:15], -v[74:75]
	v_fma_f64 v[48:49], v[148:149], s[14:15], v[74:75]
	s_delay_alu instid0(VALU_DEP_2) | instskip(SKIP_1) | instid1(VALU_DEP_3)
	v_add_f64_e32 v[78:79], v[78:79], v[42:43]
	v_fma_f64 v[42:43], v[181:182], s[26:27], v[84:85]
	v_add_f64_e32 v[48:49], v[48:49], v[46:47]
	s_delay_alu instid0(VALU_DEP_2) | instskip(SKIP_1) | instid1(VALU_DEP_1)
	v_add_f64_e32 v[42:43], v[42:43], v[40:41]
	v_fma_f64 v[40:41], v[158:159], s[22:23], -v[80:81]
	v_add_f64_e32 v[40:41], v[40:41], v[78:79]
	v_fma_f64 v[78:79], v[181:182], s[40:41], v[84:85]
	s_delay_alu instid0(VALU_DEP_1) | instskip(SKIP_4) | instid1(VALU_DEP_1)
	v_add_f64_e32 v[46:47], v[78:79], v[44:45]
	v_add_f64_e32 v[44:45], v[50:51], v[48:49]
	scratch_load_b64 v[50:51], off, off offset:132 th:TH_LOAD_LU ; 8-byte Folded Reload
	v_mul_f64_e32 v[48:49], s[28:29], v[154:155]
	s_wait_loadcnt 0x0
	v_add_f64_e32 v[48:49], v[50:51], v[48:49]
	v_mul_f64_e32 v[50:51], s[22:23], v[142:143]
	s_delay_alu instid0(VALU_DEP_1) | instskip(SKIP_1) | instid1(VALU_DEP_1)
	v_add_f64_e32 v[50:51], v[52:53], v[50:51]
	v_mul_f64_e32 v[52:53], s[20:21], v[126:127]
	v_add_f64_e32 v[52:53], v[56:57], v[52:53]
	v_mul_f64_e32 v[56:57], s[16:17], v[114:115]
	s_delay_alu instid0(VALU_DEP_1) | instskip(SKIP_1) | instid1(VALU_DEP_1)
	v_add_f64_e32 v[56:57], v[58:59], v[56:57]
	v_mul_f64_e32 v[58:59], s[14:15], v[82:83]
	v_add_f64_e32 v[58:59], v[60:61], v[58:59]
	v_mul_f64_e32 v[60:61], s[28:29], v[138:139]
	s_delay_alu instid0(VALU_DEP_2)
	v_add_f64_e32 v[58:59], v[58:59], v[68:69]
	scratch_load_b64 v[68:69], off, off offset:84 th:TH_LOAD_LU ; 8-byte Folded Reload
	v_add_f64_e64 v[60:61], v[60:61], -v[62:63]
	v_mul_f64_e32 v[62:63], s[14:15], v[76:77]
	v_add_f64_e32 v[56:57], v[56:57], v[58:59]
	v_mul_f64_e32 v[58:59], s[30:31], v[162:163]
	s_delay_alu instid0(VALU_DEP_3) | instskip(SKIP_1) | instid1(VALU_DEP_4)
	v_add_f64_e64 v[62:63], v[62:63], -v[64:65]
	v_mul_f64_e32 v[64:65], s[16:17], v[86:87]
	v_add_f64_e32 v[52:53], v[52:53], v[56:57]
	v_mul_f64_e32 v[56:57], s[30:31], v[148:149]
	s_delay_alu instid0(VALU_DEP_4) | instskip(NEXT) | instid1(VALU_DEP_4)
	v_add_f64_e32 v[54:55], v[62:63], v[54:55]
	v_add_f64_e64 v[64:65], v[64:65], -v[66:67]
	v_mul_f64_e32 v[66:67], s[20:21], v[94:95]
	v_mul_f64_e32 v[62:63], s[22:23], v[122:123]
	v_add_f64_e32 v[50:51], v[50:51], v[52:53]
	s_delay_alu instid0(VALU_DEP_4) | instskip(SKIP_3) | instid1(VALU_DEP_2)
	v_add_f64_e32 v[54:55], v[64:65], v[54:55]
	scratch_load_b64 v[64:65], off, off offset:148 th:TH_LOAD_LU ; 8-byte Folded Reload
	v_add_f64_e64 v[66:67], v[66:67], -v[70:71]
	v_add_f64_e32 v[48:49], v[48:49], v[50:51]
	v_add_f64_e32 v[54:55], v[66:67], v[54:55]
	s_wait_loadcnt 0x1
	v_add_f64_e64 v[62:63], v[62:63], -v[68:69]
	s_delay_alu instid0(VALU_DEP_1)
	v_add_f64_e32 v[52:53], v[62:63], v[54:55]
	scratch_load_b64 v[62:63], off, off offset:156 th:TH_LOAD_LU ; 8-byte Folded Reload
	v_mul_f64_e32 v[54:55], s[36:37], v[170:171]
	v_add_f64_e32 v[50:51], v[60:61], v[52:53]
	scratch_load_b64 v[60:61], off, off offset:140 th:TH_LOAD_LU ; 8-byte Folded Reload
	v_mul_f64_e32 v[52:53], s[36:37], v[158:159]
	s_wait_loadcnt 0x2
	v_add_f64_e32 v[58:59], v[64:65], v[58:59]
	scratch_load_b64 v[64:65], off, off offset:124 th:TH_LOAD_LU ; 8-byte Folded Reload
	v_add_f64_e32 v[48:49], v[58:59], v[48:49]
	s_wait_loadcnt 0x2
	v_add_f64_e32 v[54:55], v[62:63], v[54:55]
	s_wait_loadcnt 0x1
	v_add_f64_e64 v[52:53], v[52:53], -v[60:61]
	s_wait_loadcnt 0x0
	v_add_f64_e64 v[56:57], v[56:57], -v[64:65]
	s_delay_alu instid0(VALU_DEP_1) | instskip(NEXT) | instid1(VALU_DEP_4)
	v_add_f64_e32 v[56:57], v[56:57], v[50:51]
	v_add_f64_e32 v[50:51], v[54:55], v[48:49]
	s_delay_alu instid0(VALU_DEP_2)
	v_add_f64_e32 v[48:49], v[52:53], v[56:57]
	s_clause 0x1
	scratch_load_b32 v52, off, off
	scratch_load_b32 v53, off, off offset:4
	s_wait_loadcnt 0x1
	v_mul_lo_u16 v52, v52, 17
	s_delay_alu instid0(VALU_DEP_1) | instskip(SKIP_1) | instid1(VALU_DEP_1)
	v_and_b32_e32 v52, 0xffff, v52
	s_wait_loadcnt 0x0
	v_add_lshl_u32 v52, v53, v52, 4
	ds_store_b128 v52, v[20:23] offset:32
	ds_store_b128 v52, v[24:27] offset:48
	;; [unrolled: 1-line block ×15, first 2 shown]
	ds_store_b128 v52, v[12:15]
	ds_store_b128 v52, v[0:3] offset:256
.LBB0_7:
	s_or_b32 exec_lo, exec_lo, s33
	scratch_load_b32 v246, off, off         ; 4-byte Folded Reload
	s_load_b128 s[4:7], s[4:5], 0x0
	global_wb scope:SCOPE_SE
	s_wait_loadcnt_dscnt 0x0
	s_wait_kmcnt 0x0
	s_barrier_signal -1
	s_barrier_wait -1
	global_inv scope:SCOPE_SE
	s_mov_b32 s28, 0xf8bb580b
	s_mov_b32 s18, 0x43842ef
	;; [unrolled: 1-line block ×21, first 2 shown]
	s_wait_alu 0xfffe
	s_mov_b32 s30, s24
	s_mov_b32 s35, 0x3fefac9e
	;; [unrolled: 1-line block ×5, first 2 shown]
	v_and_b32_e32 v8, 0xff, v246
	s_delay_alu instid0(VALU_DEP_1) | instskip(NEXT) | instid1(VALU_DEP_1)
	v_mul_lo_u16 v8, 0xf1, v8
	v_lshrrev_b16 v88, 12, v8
	s_delay_alu instid0(VALU_DEP_1) | instskip(NEXT) | instid1(VALU_DEP_1)
	v_mul_lo_u16 v8, v88, 17
	v_sub_nc_u16 v8, v246, v8
	s_delay_alu instid0(VALU_DEP_1) | instskip(NEXT) | instid1(VALU_DEP_1)
	v_and_b32_e32 v89, 0xff, v8
	v_mul_u32_u24_e32 v8, 10, v89
	s_delay_alu instid0(VALU_DEP_1)
	v_lshlrev_b32_e32 v80, 4, v8
	s_clause 0x2
	global_load_b128 v[28:31], v80, s[2:3]
	global_load_b128 v[24:27], v80, s[2:3] offset:144
	global_load_b128 v[32:35], v80, s[2:3] offset:16
	scratch_load_b32 v247, off, off offset:4 ; 4-byte Folded Reload
	global_load_b128 v[40:43], v80, s[2:3] offset:32
	s_wait_loadcnt 0x1
	v_add_lshl_u32 v233, v247, v246, 4
	ds_load_b128 v[8:11], v233 offset:1360
	ds_load_b128 v[52:55], v233 offset:5440
	;; [unrolled: 1-line block ×5, first 2 shown]
	s_wait_dscnt 0x4
	v_mul_f64_e32 v[16:17], v[10:11], v[30:31]
	v_mul_f64_e32 v[18:19], v[8:9], v[30:31]
	s_wait_dscnt 0x2
	v_mul_f64_e32 v[22:23], v[14:15], v[26:27]
	v_mul_f64_e32 v[20:21], v[12:13], v[26:27]
	s_delay_alu instid0(VALU_DEP_4) | instskip(NEXT) | instid1(VALU_DEP_4)
	v_fma_f64 v[84:85], v[8:9], v[28:29], -v[16:17]
	v_fma_f64 v[86:87], v[10:11], v[28:29], v[18:19]
	ds_load_b128 v[16:19], v233 offset:2720
	v_fma_f64 v[10:11], v[12:13], v[24:25], -v[22:23]
	v_fma_f64 v[8:9], v[14:15], v[24:25], v[20:21]
	ds_load_b128 v[20:23], v233 offset:12240
	s_wait_dscnt 0x1
	v_mul_f64_e32 v[36:37], v[18:19], v[34:35]
	v_mul_f64_e32 v[12:13], v[16:17], v[34:35]
	v_add_f64_e32 v[116:117], v[84:85], v[10:11]
	v_add_f64_e32 v[136:137], v[86:87], v[8:9]
	s_delay_alu instid0(VALU_DEP_4)
	v_fma_f64 v[16:17], v[16:17], v[32:33], -v[36:37]
	global_load_b128 v[36:39], v80, s[2:3] offset:128
	v_fma_f64 v[18:19], v[18:19], v[32:33], v[12:13]
	s_wait_loadcnt_dscnt 0x0
	v_mul_f64_e32 v[12:13], v[20:21], v[38:39]
	v_mul_f64_e32 v[14:15], v[22:23], v[38:39]
	s_delay_alu instid0(VALU_DEP_2) | instskip(NEXT) | instid1(VALU_DEP_2)
	v_fma_f64 v[12:13], v[22:23], v[36:37], v[12:13]
	v_fma_f64 v[14:15], v[20:21], v[36:37], -v[14:15]
	ds_load_b128 v[20:23], v233 offset:4080
	s_wait_dscnt 0x0
	v_mul_f64_e32 v[44:45], v[22:23], v[42:43]
	v_add_f64_e32 v[160:161], v[18:19], v[12:13]
	s_delay_alu instid0(VALU_DEP_2) | instskip(SKIP_2) | instid1(VALU_DEP_1)
	v_fma_f64 v[64:65], v[20:21], v[40:41], -v[44:45]
	global_load_b128 v[44:47], v80, s[2:3] offset:112
	v_mul_f64_e32 v[20:21], v[20:21], v[42:43]
	v_fma_f64 v[66:67], v[22:23], v[40:41], v[20:21]
	s_wait_loadcnt 0x0
	v_mul_f64_e32 v[20:21], v[48:49], v[46:47]
	v_mul_f64_e32 v[22:23], v[50:51], v[46:47]
	s_delay_alu instid0(VALU_DEP_2) | instskip(NEXT) | instid1(VALU_DEP_2)
	v_fma_f64 v[20:21], v[50:51], v[44:45], v[20:21]
	v_fma_f64 v[22:23], v[48:49], v[44:45], -v[22:23]
	global_load_b128 v[48:51], v80, s[2:3] offset:48
	v_add_f64_e64 v[164:165], v[66:67], -v[20:21]
	v_add_f64_e32 v[166:167], v[64:65], v[22:23]
	v_add_f64_e64 v[170:171], v[64:65], -v[22:23]
	v_add_f64_e32 v[173:174], v[66:67], v[20:21]
	s_wait_alu 0xfffe
	s_delay_alu instid0(VALU_DEP_4) | instskip(SKIP_1) | instid1(VALU_DEP_4)
	v_mul_f64_e32 v[168:169], s[30:31], v[164:165]
	v_mul_f64_e32 v[225:226], s[28:29], v[164:165]
	;; [unrolled: 1-line block ×4, first 2 shown]
	s_wait_loadcnt 0x0
	v_mul_f64_e32 v[56:57], v[54:55], v[50:51]
	s_delay_alu instid0(VALU_DEP_1)
	v_fma_f64 v[68:69], v[52:53], v[48:49], -v[56:57]
	v_mul_f64_e32 v[52:53], v[52:53], v[50:51]
	ds_load_b128 v[56:59], v233 offset:9520
	v_fma_f64 v[72:73], v[54:55], v[48:49], v[52:53]
	global_load_b128 v[52:55], v80, s[2:3] offset:96
	s_wait_loadcnt_dscnt 0x0
	v_mul_f64_e32 v[60:61], v[58:59], v[54:55]
	s_delay_alu instid0(VALU_DEP_1)
	v_fma_f64 v[70:71], v[56:57], v[52:53], -v[60:61]
	v_mul_f64_e32 v[56:57], v[56:57], v[54:55]
	ds_load_b128 v[60:63], v233 offset:6800
	v_add_f64_e32 v[179:180], v[68:69], v[70:71]
	v_fma_f64 v[74:75], v[58:59], v[52:53], v[56:57]
	global_load_b128 v[56:59], v80, s[2:3] offset:64
	v_add_f64_e64 v[183:184], v[68:69], -v[70:71]
	v_add_f64_e64 v[177:178], v[72:73], -v[74:75]
	v_add_f64_e32 v[185:186], v[72:73], v[74:75]
	s_delay_alu instid0(VALU_DEP_3)
	v_mul_f64_e32 v[187:188], s[34:35], v[183:184]
	v_mul_f64_e32 v[215:216], s[28:29], v[183:184]
	;; [unrolled: 1-line block ×6, first 2 shown]
	s_wait_loadcnt_dscnt 0x0
	v_mul_f64_e32 v[76:77], v[62:63], v[58:59]
	s_delay_alu instid0(VALU_DEP_1) | instskip(SKIP_1) | instid1(VALU_DEP_1)
	v_fma_f64 v[76:77], v[60:61], v[56:57], -v[76:77]
	v_mul_f64_e32 v[60:61], v[60:61], v[58:59]
	v_fma_f64 v[78:79], v[62:63], v[56:57], v[60:61]
	global_load_b128 v[60:63], v80, s[2:3] offset:80
	s_wait_loadcnt 0x0
	v_mul_f64_e32 v[80:81], v[92:93], v[62:63]
	v_mul_f64_e32 v[82:83], v[90:91], v[62:63]
	s_delay_alu instid0(VALU_DEP_2) | instskip(SKIP_1) | instid1(VALU_DEP_3)
	v_fma_f64 v[80:81], v[90:91], v[60:61], -v[80:81]
	v_add_f64_e64 v[90:91], v[86:87], -v[8:9]
	v_fma_f64 v[82:83], v[92:93], v[60:61], v[82:83]
	s_delay_alu instid0(VALU_DEP_3) | instskip(NEXT) | instid1(VALU_DEP_3)
	v_add_f64_e32 v[191:192], v[76:77], v[80:81]
	v_mul_f64_e32 v[92:93], s[28:29], v[90:91]
	v_mul_f64_e32 v[94:95], s[26:27], v[90:91]
	;; [unrolled: 1-line block ×5, first 2 shown]
	v_add_f64_e64 v[189:190], v[78:79], -v[82:83]
	v_add_f64_e64 v[195:196], v[76:77], -v[80:81]
	v_add_f64_e32 v[197:198], v[78:79], v[82:83]
	v_fma_f64 v[118:119], v[116:117], s[16:17], -v[92:93]
	v_fma_f64 v[120:121], v[116:117], s[16:17], v[92:93]
	v_fma_f64 v[122:123], v[116:117], s[0:1], -v[94:95]
	v_fma_f64 v[94:95], v[116:117], s[0:1], v[94:95]
	;; [unrolled: 2-line block ×5, first 2 shown]
	v_add_f64_e64 v[90:91], v[84:85], -v[10:11]
	v_mul_f64_e32 v[193:194], s[36:37], v[189:190]
	v_mul_f64_e32 v[199:200], s[36:37], v[195:196]
	;; [unrolled: 1-line block ×9, first 2 shown]
	v_fma_f64 v[142:143], v[136:137], s[0:1], v[130:131]
	v_fma_f64 v[130:131], v[136:137], s[0:1], -v[130:131]
	v_fma_f64 v[138:139], v[136:137], s[16:17], -v[92:93]
	v_fma_f64 v[140:141], v[136:137], s[16:17], v[92:93]
	v_fma_f64 v[144:145], v[136:137], s[10:11], v[132:133]
	v_fma_f64 v[132:133], v[136:137], s[10:11], -v[132:133]
	v_fma_f64 v[146:147], v[136:137], s[14:15], v[134:135]
	v_fma_f64 v[134:135], v[136:137], s[14:15], -v[134:135]
	;; [unrolled: 2-line block ×3, first 2 shown]
	ds_load_b128 v[90:93], v233
	global_wb scope:SCOPE_SE
	s_wait_dscnt 0x0
	s_barrier_signal -1
	s_barrier_wait -1
	global_inv scope:SCOPE_SE
	v_add_f64_e32 v[152:153], v[92:93], v[86:87]
	v_add_f64_e32 v[150:151], v[90:91], v[84:85]
	;; [unrolled: 1-line block ×10, first 2 shown]
	v_add_f64_e64 v[130:131], v[18:19], -v[12:13]
	v_add_f64_e32 v[158:159], v[92:93], v[138:139]
	v_add_f64_e32 v[120:121], v[92:93], v[144:145]
	;; [unrolled: 1-line block ×6, first 2 shown]
	v_add_f64_e64 v[148:149], v[16:17], -v[14:15]
	v_add_f64_e32 v[112:113], v[90:91], v[112:113]
	v_add_f64_e32 v[114:115], v[90:91], v[114:115]
	;; [unrolled: 1-line block ×9, first 2 shown]
	v_mul_f64_e32 v[146:147], s[20:21], v[130:131]
	v_mul_f64_e32 v[201:202], s[30:31], v[130:131]
	;; [unrolled: 1-line block ×6, first 2 shown]
	s_mov_b32 s27, 0x3fed1bb4
	v_mul_f64_e32 v[203:204], s[30:31], v[148:149]
	s_wait_alu 0xfffe
	v_mul_f64_e32 v[209:210], s[26:27], v[164:165]
	v_mul_f64_e32 v[211:212], s[26:27], v[170:171]
	;; [unrolled: 1-line block ×5, first 2 shown]
	v_add_f64_e32 v[18:19], v[18:19], v[66:67]
	v_add_f64_e32 v[16:17], v[16:17], v[64:65]
	v_fma_f64 v[90:91], v[144:145], s[14:15], -v[146:147]
	v_fma_f64 v[92:93], v[160:161], s[22:23], v[203:204]
	v_fma_f64 v[116:117], v[166:167], s[0:1], -v[209:210]
	v_add_f64_e32 v[18:19], v[18:19], v[72:73]
	v_add_f64_e32 v[16:17], v[16:17], v[68:69]
	;; [unrolled: 1-line block ×3, first 2 shown]
	v_fma_f64 v[90:91], v[160:161], s[14:15], v[162:163]
	v_add_f64_e32 v[92:93], v[92:93], v[120:121]
	v_fma_f64 v[120:121], v[166:167], s[16:17], -v[225:226]
	v_add_f64_e32 v[18:19], v[18:19], v[78:79]
	v_add_f64_e32 v[16:17], v[16:17], v[76:77]
	;; [unrolled: 1-line block ×3, first 2 shown]
	v_fma_f64 v[90:91], v[166:167], s[22:23], -v[168:169]
	s_delay_alu instid0(VALU_DEP_4) | instskip(NEXT) | instid1(VALU_DEP_4)
	v_add_f64_e32 v[18:19], v[18:19], v[82:83]
	v_add_f64_e32 v[16:17], v[16:17], v[80:81]
	s_delay_alu instid0(VALU_DEP_3) | instskip(SKIP_1) | instid1(VALU_DEP_4)
	v_add_f64_e32 v[84:85], v[90:91], v[84:85]
	v_fma_f64 v[90:91], v[173:174], s[22:23], v[175:176]
	v_add_f64_e32 v[18:19], v[18:19], v[74:75]
	s_delay_alu instid0(VALU_DEP_4) | instskip(NEXT) | instid1(VALU_DEP_3)
	v_add_f64_e32 v[16:17], v[16:17], v[70:71]
	v_add_f64_e32 v[86:87], v[90:91], v[86:87]
	v_fma_f64 v[90:91], v[179:180], s[10:11], -v[181:182]
	s_delay_alu instid0(VALU_DEP_4) | instskip(NEXT) | instid1(VALU_DEP_4)
	v_add_f64_e32 v[18:19], v[18:19], v[20:21]
	v_add_f64_e32 v[16:17], v[16:17], v[22:23]
	s_delay_alu instid0(VALU_DEP_3) | instskip(SKIP_1) | instid1(VALU_DEP_4)
	v_add_f64_e32 v[84:85], v[90:91], v[84:85]
	v_fma_f64 v[90:91], v[185:186], s[10:11], v[187:188]
	v_add_f64_e32 v[12:13], v[18:19], v[12:13]
	s_delay_alu instid0(VALU_DEP_4) | instskip(NEXT) | instid1(VALU_DEP_3)
	v_add_f64_e32 v[14:15], v[16:17], v[14:15]
	v_add_f64_e32 v[86:87], v[90:91], v[86:87]
	v_fma_f64 v[90:91], v[191:192], s[16:17], -v[193:194]
	s_delay_alu instid0(VALU_DEP_4) | instskip(NEXT) | instid1(VALU_DEP_4)
	v_add_f64_e32 v[12:13], v[12:13], v[8:9]
	v_add_f64_e32 v[10:11], v[14:15], v[10:11]
	v_fma_f64 v[8:9], v[144:145], s[0:1], v[205:206]
	v_fma_f64 v[14:15], v[160:161], s[0:1], -v[207:208]
	v_add_f64_e32 v[84:85], v[90:91], v[84:85]
	v_fma_f64 v[90:91], v[197:198], s[16:17], v[199:200]
	s_delay_alu instid0(VALU_DEP_4) | instskip(NEXT) | instid1(VALU_DEP_4)
	v_add_f64_e32 v[8:9], v[8:9], v[156:157]
	v_add_f64_e32 v[14:15], v[14:15], v[158:159]
	s_delay_alu instid0(VALU_DEP_3) | instskip(SKIP_1) | instid1(VALU_DEP_1)
	v_add_f64_e32 v[86:87], v[90:91], v[86:87]
	v_fma_f64 v[90:91], v[144:145], s[22:23], -v[201:202]
	v_add_f64_e32 v[90:91], v[90:91], v[118:119]
	v_fma_f64 v[118:119], v[160:161], s[10:11], v[223:224]
	s_delay_alu instid0(VALU_DEP_2) | instskip(SKIP_1) | instid1(VALU_DEP_3)
	v_add_f64_e32 v[90:91], v[116:117], v[90:91]
	v_fma_f64 v[116:117], v[173:174], s[0:1], v[211:212]
	v_add_f64_e32 v[118:119], v[118:119], v[124:125]
	v_mul_f64_e32 v[124:125], s[36:37], v[130:131]
	s_delay_alu instid0(VALU_DEP_3) | instskip(SKIP_1) | instid1(VALU_DEP_1)
	v_add_f64_e32 v[92:93], v[116:117], v[92:93]
	v_fma_f64 v[116:117], v[179:180], s[16:17], -v[213:214]
	v_add_f64_e32 v[90:91], v[116:117], v[90:91]
	v_fma_f64 v[116:117], v[185:186], s[16:17], v[215:216]
	s_delay_alu instid0(VALU_DEP_1) | instskip(SKIP_1) | instid1(VALU_DEP_1)
	v_add_f64_e32 v[92:93], v[116:117], v[92:93]
	v_fma_f64 v[116:117], v[191:192], s[14:15], -v[217:218]
	v_add_f64_e32 v[90:91], v[116:117], v[90:91]
	v_fma_f64 v[116:117], v[197:198], s[14:15], v[219:220]
	s_delay_alu instid0(VALU_DEP_1) | instskip(SKIP_1) | instid1(VALU_DEP_1)
	v_add_f64_e32 v[92:93], v[116:117], v[92:93]
	v_fma_f64 v[116:117], v[144:145], s[10:11], -v[221:222]
	v_add_f64_e32 v[116:117], v[116:117], v[122:123]
	s_delay_alu instid0(VALU_DEP_1) | instskip(SKIP_1) | instid1(VALU_DEP_1)
	v_add_f64_e32 v[116:117], v[120:121], v[116:117]
	v_fma_f64 v[120:121], v[173:174], s[16:17], v[227:228]
	v_add_f64_e32 v[118:119], v[120:121], v[118:119]
	v_fma_f64 v[120:121], v[179:180], s[22:23], -v[229:230]
	s_delay_alu instid0(VALU_DEP_1) | instskip(SKIP_1) | instid1(VALU_DEP_1)
	v_add_f64_e32 v[116:117], v[120:121], v[116:117]
	v_fma_f64 v[120:121], v[185:186], s[22:23], v[231:232]
	v_add_f64_e32 v[118:119], v[120:121], v[118:119]
	v_fma_f64 v[120:121], v[191:192], s[0:1], -v[234:235]
	;; [unrolled: 5-line block ×3, first 2 shown]
	v_fma_f64 v[124:125], v[144:145], s[16:17], v[124:125]
	s_delay_alu instid0(VALU_DEP_2) | instskip(SKIP_1) | instid1(VALU_DEP_3)
	v_add_f64_e32 v[120:121], v[120:121], v[126:127]
	v_mul_f64_e32 v[126:127], s[36:37], v[148:149]
	v_add_f64_e32 v[124:125], v[124:125], v[138:139]
	v_fma_f64 v[138:139], v[197:198], s[16:17], -v[199:200]
	s_delay_alu instid0(VALU_DEP_3) | instskip(SKIP_1) | instid1(VALU_DEP_2)
	v_fma_f64 v[122:123], v[160:161], s[16:17], v[126:127]
	v_fma_f64 v[126:127], v[160:161], s[16:17], -v[126:127]
	v_add_f64_e32 v[122:123], v[122:123], v[128:129]
	v_mul_f64_e32 v[128:129], s[20:21], v[164:165]
	s_delay_alu instid0(VALU_DEP_3) | instskip(NEXT) | instid1(VALU_DEP_2)
	v_add_f64_e32 v[126:127], v[126:127], v[136:137]
	v_fma_f64 v[130:131], v[166:167], s[14:15], -v[128:129]
	v_fma_f64 v[128:129], v[166:167], s[14:15], v[128:129]
	s_delay_alu instid0(VALU_DEP_2) | instskip(SKIP_1) | instid1(VALU_DEP_3)
	v_add_f64_e32 v[120:121], v[130:131], v[120:121]
	v_mul_f64_e32 v[130:131], s[20:21], v[170:171]
	v_add_f64_e32 v[124:125], v[128:129], v[124:125]
	s_delay_alu instid0(VALU_DEP_2) | instskip(SKIP_1) | instid1(VALU_DEP_2)
	v_fma_f64 v[148:149], v[173:174], s[14:15], v[130:131]
	v_fma_f64 v[128:129], v[173:174], s[14:15], -v[130:131]
	v_add_f64_e32 v[122:123], v[148:149], v[122:123]
	v_mul_f64_e32 v[148:149], s[26:27], v[177:178]
	s_delay_alu instid0(VALU_DEP_3) | instskip(NEXT) | instid1(VALU_DEP_2)
	v_add_f64_e32 v[126:127], v[128:129], v[126:127]
	v_fma_f64 v[238:239], v[179:180], s[0:1], -v[148:149]
	v_fma_f64 v[128:129], v[179:180], s[0:1], v[148:149]
	v_mul_f64_e32 v[148:149], s[20:21], v[177:178]
	s_delay_alu instid0(VALU_DEP_3) | instskip(SKIP_1) | instid1(VALU_DEP_4)
	v_add_f64_e32 v[120:121], v[238:239], v[120:121]
	v_mul_f64_e32 v[238:239], s[26:27], v[183:184]
	v_add_f64_e32 v[124:125], v[128:129], v[124:125]
	s_delay_alu instid0(VALU_DEP_4) | instskip(NEXT) | instid1(VALU_DEP_3)
	v_fma_f64 v[20:21], v[179:180], s[14:15], v[148:149]
	v_fma_f64 v[240:241], v[185:186], s[0:1], v[238:239]
	v_fma_f64 v[128:129], v[185:186], s[0:1], -v[238:239]
	s_delay_alu instid0(VALU_DEP_2) | instskip(SKIP_1) | instid1(VALU_DEP_3)
	v_add_f64_e32 v[122:123], v[240:241], v[122:123]
	v_mul_f64_e32 v[240:241], s[18:19], v[189:190]
	v_add_f64_e32 v[126:127], v[128:129], v[126:127]
	s_delay_alu instid0(VALU_DEP_2) | instskip(SKIP_1) | instid1(VALU_DEP_2)
	v_fma_f64 v[242:243], v[191:192], s[10:11], -v[240:241]
	v_fma_f64 v[128:129], v[191:192], s[10:11], v[240:241]
	v_add_f64_e32 v[120:121], v[242:243], v[120:121]
	v_mul_f64_e32 v[242:243], s[18:19], v[195:196]
	s_delay_alu instid0(VALU_DEP_3) | instskip(SKIP_1) | instid1(VALU_DEP_3)
	v_add_f64_e32 v[124:125], v[128:129], v[124:125]
	v_fma_f64 v[128:129], v[144:145], s[10:11], v[221:222]
	v_fma_f64 v[130:131], v[197:198], s[10:11], -v[242:243]
	v_fma_f64 v[244:245], v[197:198], s[10:11], v[242:243]
	s_delay_alu instid0(VALU_DEP_3) | instskip(SKIP_1) | instid1(VALU_DEP_4)
	v_add_f64_e32 v[114:115], v[128:129], v[114:115]
	v_fma_f64 v[128:129], v[160:161], s[10:11], -v[223:224]
	v_add_f64_e32 v[126:127], v[130:131], v[126:127]
	v_fma_f64 v[130:131], v[166:167], s[16:17], v[225:226]
	v_add_f64_e32 v[122:123], v[244:245], v[122:123]
	s_delay_alu instid0(VALU_DEP_4) | instskip(SKIP_1) | instid1(VALU_DEP_4)
	v_add_f64_e32 v[128:129], v[128:129], v[134:135]
	v_fma_f64 v[134:135], v[197:198], s[0:1], -v[236:237]
	v_add_f64_e32 v[114:115], v[130:131], v[114:115]
	v_fma_f64 v[130:131], v[173:174], s[16:17], -v[227:228]
	s_delay_alu instid0(VALU_DEP_1) | instskip(SKIP_1) | instid1(VALU_DEP_1)
	v_add_f64_e32 v[128:129], v[130:131], v[128:129]
	v_fma_f64 v[130:131], v[179:180], s[22:23], v[229:230]
	v_add_f64_e32 v[114:115], v[130:131], v[114:115]
	v_fma_f64 v[130:131], v[185:186], s[22:23], -v[231:232]
	s_delay_alu instid0(VALU_DEP_1) | instskip(SKIP_1) | instid1(VALU_DEP_2)
	v_add_f64_e32 v[130:131], v[130:131], v[128:129]
	v_fma_f64 v[128:129], v[191:192], s[0:1], v[234:235]
	v_add_f64_e32 v[130:131], v[134:135], v[130:131]
	s_delay_alu instid0(VALU_DEP_2) | instskip(SKIP_2) | instid1(VALU_DEP_2)
	v_add_f64_e32 v[128:129], v[128:129], v[114:115]
	v_fma_f64 v[114:115], v[144:145], s[22:23], v[201:202]
	v_fma_f64 v[134:135], v[197:198], s[14:15], -v[219:220]
	v_add_f64_e32 v[112:113], v[114:115], v[112:113]
	v_fma_f64 v[114:115], v[160:161], s[22:23], -v[203:204]
	s_delay_alu instid0(VALU_DEP_1) | instskip(SKIP_1) | instid1(VALU_DEP_1)
	v_add_f64_e32 v[114:115], v[114:115], v[132:133]
	v_fma_f64 v[132:133], v[166:167], s[0:1], v[209:210]
	v_add_f64_e32 v[112:113], v[132:133], v[112:113]
	v_fma_f64 v[132:133], v[173:174], s[0:1], -v[211:212]
	s_delay_alu instid0(VALU_DEP_1) | instskip(SKIP_1) | instid1(VALU_DEP_1)
	v_add_f64_e32 v[114:115], v[132:133], v[114:115]
	v_fma_f64 v[132:133], v[179:180], s[16:17], v[213:214]
	v_add_f64_e32 v[112:113], v[132:133], v[112:113]
	v_fma_f64 v[132:133], v[185:186], s[16:17], -v[215:216]
	s_delay_alu instid0(VALU_DEP_1) | instskip(SKIP_1) | instid1(VALU_DEP_2)
	v_add_f64_e32 v[114:115], v[132:133], v[114:115]
	v_fma_f64 v[132:133], v[191:192], s[14:15], v[217:218]
	v_add_f64_e32 v[134:135], v[134:135], v[114:115]
	s_delay_alu instid0(VALU_DEP_2) | instskip(SKIP_3) | instid1(VALU_DEP_3)
	v_add_f64_e32 v[132:133], v[132:133], v[112:113]
	v_fma_f64 v[112:113], v[144:145], s[14:15], v[146:147]
	v_fma_f64 v[114:115], v[166:167], s[22:23], v[168:169]
	v_mul_f64_e32 v[146:147], s[18:19], v[170:171]
	v_add_f64_e32 v[94:95], v[112:113], v[94:95]
	v_fma_f64 v[112:113], v[160:161], s[14:15], -v[162:163]
	v_mul_f64_e32 v[162:163], s[24:25], v[189:190]
	s_delay_alu instid0(VALU_DEP_4) | instskip(NEXT) | instid1(VALU_DEP_4)
	v_fma_f64 v[18:19], v[173:174], s[10:11], -v[146:147]
	v_add_f64_e32 v[94:95], v[114:115], v[94:95]
	s_delay_alu instid0(VALU_DEP_4) | instskip(SKIP_1) | instid1(VALU_DEP_4)
	v_add_f64_e32 v[112:113], v[112:113], v[142:143]
	v_fma_f64 v[114:115], v[173:174], s[22:23], -v[175:176]
	v_add_f64_e32 v[14:15], v[18:19], v[14:15]
	s_delay_alu instid0(VALU_DEP_2) | instskip(SKIP_1) | instid1(VALU_DEP_1)
	v_add_f64_e32 v[112:113], v[114:115], v[112:113]
	v_fma_f64 v[114:115], v[179:180], s[10:11], v[181:182]
	v_add_f64_e32 v[94:95], v[114:115], v[94:95]
	v_fma_f64 v[114:115], v[185:186], s[10:11], -v[187:188]
	s_delay_alu instid0(VALU_DEP_1) | instskip(SKIP_1) | instid1(VALU_DEP_2)
	v_add_f64_e32 v[112:113], v[114:115], v[112:113]
	v_fma_f64 v[114:115], v[191:192], s[16:17], v[193:194]
	v_add_f64_e32 v[138:139], v[138:139], v[112:113]
	s_delay_alu instid0(VALU_DEP_2)
	v_add_f64_e32 v[136:137], v[114:115], v[94:95]
	v_fma_f64 v[94:95], v[144:145], s[0:1], -v[205:206]
	v_fma_f64 v[112:113], v[160:161], s[0:1], v[207:208]
	v_mul_f64_e32 v[114:115], s[18:19], v[164:165]
	v_mul_f64_e32 v[164:165], s[24:25], v[195:196]
	v_cmp_gt_u16_e64 s0, 17, v246
	v_add_f64_e32 v[94:95], v[94:95], v[154:155]
	v_add_f64_e32 v[112:113], v[112:113], v[140:141]
	v_fma_f64 v[140:141], v[166:167], s[10:11], -v[114:115]
	v_mul_f64_e32 v[154:155], s[20:21], v[183:184]
	v_fma_f64 v[16:17], v[166:167], s[10:11], v[114:115]
	v_fma_f64 v[18:19], v[197:198], s[22:23], -v[164:165]
	s_delay_alu instid0(VALU_DEP_4) | instskip(SKIP_4) | instid1(VALU_DEP_4)
	v_add_f64_e32 v[94:95], v[140:141], v[94:95]
	v_fma_f64 v[140:141], v[173:174], s[10:11], v[146:147]
	v_fma_f64 v[22:23], v[185:186], s[14:15], -v[154:155]
	v_add_f64_e32 v[8:9], v[16:17], v[8:9]
	v_fma_f64 v[16:17], v[191:192], s[22:23], v[162:163]
	v_add_f64_e32 v[112:113], v[140:141], v[112:113]
	v_fma_f64 v[140:141], v[179:180], s[14:15], -v[148:149]
	s_delay_alu instid0(VALU_DEP_4) | instskip(SKIP_1) | instid1(VALU_DEP_3)
	v_add_f64_e32 v[8:9], v[20:21], v[8:9]
	v_add_f64_e32 v[14:15], v[22:23], v[14:15]
	;; [unrolled: 1-line block ×3, first 2 shown]
	v_fma_f64 v[140:141], v[185:186], s[14:15], v[154:155]
	s_delay_alu instid0(VALU_DEP_3) | instskip(NEXT) | instid1(VALU_DEP_2)
	v_add_f64_e32 v[114:115], v[18:19], v[14:15]
	v_add_f64_e32 v[112:113], v[140:141], v[112:113]
	v_fma_f64 v[140:141], v[191:192], s[22:23], -v[162:163]
	s_delay_alu instid0(VALU_DEP_1) | instskip(SKIP_1) | instid1(VALU_DEP_1)
	v_add_f64_e32 v[140:141], v[140:141], v[94:95]
	v_fma_f64 v[94:95], v[197:198], s[22:23], v[164:165]
	v_add_f64_e32 v[142:143], v[94:95], v[112:113]
	v_add_f64_e32 v[112:113], v[16:17], v[8:9]
	v_and_b32_e32 v8, 0xffff, v88
	s_delay_alu instid0(VALU_DEP_1) | instskip(NEXT) | instid1(VALU_DEP_1)
	v_mul_u32_u24_e32 v8, 0xbb, v8
	v_add_nc_u32_e32 v8, v8, v89
	s_delay_alu instid0(VALU_DEP_1)
	v_add_lshl_u32 v234, v247, v8, 4
	ds_store_b128 v234, v[84:87] offset:544
	ds_store_b128 v234, v[90:93] offset:816
	;; [unrolled: 1-line block ×9, first 2 shown]
	ds_store_b128 v234, v[10:13]
	ds_store_b128 v234, v[112:115] offset:2720
	global_wb scope:SCOPE_SE
	s_wait_dscnt 0x0
	s_barrier_signal -1
	s_barrier_wait -1
	global_inv scope:SCOPE_SE
	ds_load_b128 v[120:123], v233
	ds_load_b128 v[116:119], v233 offset:1360
	ds_load_b128 v[148:151], v233 offset:2992
	;; [unrolled: 1-line block ×9, first 2 shown]
	s_and_saveexec_b32 s1, s0
	s_cbranch_execz .LBB0_9
; %bb.8:
	ds_load_b128 v[112:115], v233 offset:2720
	ds_load_b128 v[108:111], v233 offset:5712
	;; [unrolled: 1-line block ×5, first 2 shown]
.LBB0_9:
	s_wait_alu 0xfffe
	s_or_b32 exec_lo, exec_lo, s1
	scratch_load_b32 v13, off, off          ; 4-byte Folded Reload
	s_mov_b32 s14, 0x134454ff
	s_mov_b32 s15, 0x3fee6f0e
	;; [unrolled: 1-line block ×3, first 2 shown]
	s_wait_alu 0xfffe
	s_mov_b32 s16, s14
	s_mov_b32 s11, 0xbfe2cf23
	s_wait_loadcnt 0x0
	v_add_co_u32 v8, s1, 0xaa, v13
	s_wait_alu 0xf1ff
	v_add_co_ci_u32_e64 v9, null, 0, 0, s1
	v_add_co_u32 v11, s1, 0xffffffef, v13
	s_wait_alu 0xf1ff
	v_add_co_ci_u32_e64 v12, null, 0, -1, s1
	v_lshlrev_b32_e32 v10, 6, v13
	s_delay_alu instid0(VALU_DEP_3) | instskip(NEXT) | instid1(VALU_DEP_3)
	v_cndmask_b32_e64 v8, v11, v8, s0
	v_cndmask_b32_e64 v9, v12, v9, s0
	s_delay_alu instid0(VALU_DEP_3)
	v_add_nc_u32_e32 v11, 0x1540, v10
	s_clause 0x3
	global_load_b128 v[68:71], v10, s[2:3] offset:2720
	global_load_b128 v[84:87], v10, s[2:3] offset:2736
	;; [unrolled: 1-line block ×4, first 2 shown]
	v_lshlrev_b64_e32 v[8:9], 6, v[8:9]
	s_clause 0x3
	global_load_b128 v[64:67], v11, s[2:3] offset:2768
	global_load_b128 v[72:75], v11, s[2:3] offset:2752
	;; [unrolled: 1-line block ×4, first 2 shown]
	v_add_co_u32 v16, s1, s2, v8
	s_wait_alu 0xf1ff
	v_add_co_ci_u32_e64 v17, s1, s3, v9, s1
	s_mov_b32 s2, 0x4755a5e
	s_clause 0x3
	global_load_b128 v[18:21], v[16:17], off offset:2736
	global_load_b128 v[8:11], v[16:17], off offset:2752
	;; [unrolled: 1-line block ×4, first 2 shown]
	s_mov_b32 s3, 0x3fe2cf23
	s_wait_alu 0xfffe
	s_mov_b32 s10, s2
	s_wait_loadcnt_dscnt 0xa05
	v_mul_f64_e32 v[160:161], v[146:147], v[86:87]
	v_mul_f64_e32 v[156:157], v[150:151], v[70:71]
	;; [unrolled: 1-line block ×3, first 2 shown]
	s_wait_loadcnt_dscnt 0x903
	v_mul_f64_e32 v[162:163], v[142:143], v[82:83]
	v_mul_f64_e32 v[164:165], v[144:145], v[86:87]
	s_wait_loadcnt_dscnt 0x801
	v_mul_f64_e32 v[166:167], v[154:155], v[78:79]
	v_mul_f64_e32 v[168:169], v[152:153], v[78:79]
	;; [unrolled: 1-line block ×3, first 2 shown]
	s_wait_loadcnt 0x5
	v_mul_f64_e32 v[173:174], v[130:131], v[90:91]
	v_mul_f64_e32 v[175:176], v[134:135], v[74:75]
	s_wait_loadcnt 0x4
	v_mul_f64_e32 v[177:178], v[126:127], v[94:95]
	s_wait_dscnt 0x0
	v_mul_f64_e32 v[179:180], v[138:139], v[66:67]
	v_mul_f64_e32 v[181:182], v[128:129], v[90:91]
	s_wait_loadcnt 0x3
	scratch_store_b128 off, v[18:21], off offset:36 ; 16-byte Folded Spill
	s_wait_loadcnt 0x2
	scratch_store_b128 off, v[8:11], off offset:20 ; 16-byte Folded Spill
	v_mul_f64_e32 v[191:192], v[102:103], v[10:11]
	v_mul_f64_e32 v[199:200], v[100:101], v[10:11]
	;; [unrolled: 1-line block ×6, first 2 shown]
	s_wait_loadcnt 0x1
	v_mul_f64_e32 v[193:194], v[110:111], v[207:208]
	s_wait_loadcnt 0x0
	v_mul_f64_e32 v[195:196], v[98:99], v[16:17]
	v_mul_f64_e32 v[197:198], v[104:105], v[20:21]
	;; [unrolled: 1-line block ×4, first 2 shown]
	s_clause 0x1
	scratch_store_b128 off, v[205:208], off offset:68
	scratch_store_b128 off, v[14:17], off offset:52
	v_fma_f64 v[144:145], v[144:145], v[84:85], -v[160:161]
	v_fma_f64 v[148:149], v[148:149], v[68:69], -v[156:157]
	v_fma_f64 v[150:151], v[150:151], v[68:69], v[158:159]
	v_fma_f64 v[140:141], v[140:141], v[80:81], -v[162:163]
	v_fma_f64 v[146:147], v[146:147], v[84:85], v[164:165]
	;; [unrolled: 2-line block ×3, first 2 shown]
	v_fma_f64 v[142:143], v[142:143], v[80:81], v[170:171]
	v_fma_f64 v[128:129], v[128:129], v[88:89], -v[173:174]
	v_fma_f64 v[132:133], v[132:133], v[72:73], -v[175:176]
	;; [unrolled: 1-line block ×4, first 2 shown]
	v_fma_f64 v[130:131], v[130:131], v[88:89], v[181:182]
	v_fma_f64 v[100:101], v[100:101], v[8:9], -v[191:192]
	v_fma_f64 v[102:103], v[102:103], v[8:9], v[199:200]
	scratch_load_b32 v8, off, off offset:8  ; 4-byte Folded Reload
	v_fma_f64 v[134:135], v[134:135], v[72:73], v[183:184]
	v_fma_f64 v[126:127], v[126:127], v[92:93], v[185:186]
	;; [unrolled: 1-line block ×3, first 2 shown]
	v_fma_f64 v[104:105], v[104:105], v[18:19], -v[189:190]
	v_fma_f64 v[108:109], v[108:109], v[205:206], -v[193:194]
	;; [unrolled: 1-line block ×3, first 2 shown]
	v_fma_f64 v[106:107], v[106:107], v[18:19], v[197:198]
	v_fma_f64 v[110:111], v[110:111], v[205:206], v[201:202]
	;; [unrolled: 1-line block ×3, first 2 shown]
	v_add_f64_e32 v[158:159], v[120:121], v[148:149]
	v_add_f64_e64 v[170:171], v[148:149], -v[144:145]
	v_add_f64_e32 v[156:157], v[144:145], v[140:141]
	v_add_f64_e64 v[179:180], v[144:145], -v[148:149]
	v_add_f64_e32 v[160:161], v[148:149], v[152:153]
	v_add_f64_e32 v[168:169], v[150:151], v[154:155]
	v_add_f64_e32 v[164:165], v[146:147], v[142:143]
	v_add_f64_e64 v[162:163], v[150:151], -v[154:155]
	v_add_f64_e32 v[173:174], v[128:129], v[132:133]
	v_add_f64_e64 v[166:167], v[146:147], -v[142:143]
	v_add_f64_e32 v[177:178], v[124:125], v[136:137]
	v_add_f64_e64 v[175:176], v[152:153], -v[140:141]
	v_add_f64_e64 v[183:184], v[140:141], -v[152:153]
	v_add_f64_e32 v[187:188], v[122:123], v[150:151]
	v_add_f64_e64 v[148:149], v[148:149], -v[152:153]
	v_add_f64_e64 v[193:194], v[144:145], -v[140:141]
	;; [unrolled: 1-line block ×3, first 2 shown]
	v_add_f64_e32 v[181:182], v[130:131], v[134:135]
	v_add_f64_e64 v[201:202], v[154:155], -v[142:143]
	v_add_f64_e32 v[185:186], v[126:127], v[138:139]
	v_add_f64_e32 v[189:190], v[104:105], v[100:101]
	v_add_f64_e64 v[150:151], v[146:147], -v[150:151]
	v_add_f64_e32 v[191:192], v[108:109], v[96:97]
	v_add_f64_e32 v[195:196], v[106:107], v[102:103]
	v_add_f64_e64 v[203:204], v[142:143], -v[154:155]
	v_add_f64_e32 v[199:200], v[110:111], v[98:99]
	v_add_f64_e32 v[205:206], v[116:117], v[124:125]
	v_add_f64_e64 v[207:208], v[126:127], -v[138:139]
	v_add_f64_e64 v[209:210], v[130:131], -v[134:135]
	;; [unrolled: 1-line block ×4, first 2 shown]
	v_add_f64_e32 v[219:220], v[118:119], v[126:127]
	v_add_f64_e64 v[124:125], v[124:125], -v[136:137]
	v_add_f64_e64 v[221:222], v[128:129], -v[132:133]
	v_add_f64_e32 v[223:224], v[112:113], v[108:109]
	v_add_f64_e32 v[225:226], v[114:115], v[110:111]
	v_add_f64_e64 v[229:230], v[110:111], -v[98:99]
	v_add_f64_e64 v[231:232], v[108:109], -v[104:105]
	;; [unrolled: 1-line block ×4, first 2 shown]
	v_fma_f64 v[156:157], v[156:157], -0.5, v[120:121]
	v_add_f64_e64 v[213:214], v[136:137], -v[132:133]
	v_fma_f64 v[120:121], v[160:161], -0.5, v[120:121]
	v_add_f64_e64 v[217:218], v[132:133], -v[136:137]
	v_fma_f64 v[164:165], v[164:165], -0.5, v[122:123]
	v_fma_f64 v[122:123], v[168:169], -0.5, v[122:123]
	;; [unrolled: 1-line block ×3, first 2 shown]
	v_add_f64_e64 v[227:228], v[126:127], -v[130:131]
	v_fma_f64 v[116:117], v[177:178], -0.5, v[116:117]
	v_add_f64_e64 v[177:178], v[106:107], -v[102:103]
	v_add_f64_e64 v[160:161], v[138:139], -v[134:135]
	;; [unrolled: 1-line block ×6, first 2 shown]
	v_fma_f64 v[181:182], v[181:182], -0.5, v[118:119]
	v_add_f64_e64 v[110:111], v[106:107], -v[110:111]
	v_fma_f64 v[118:119], v[185:186], -0.5, v[118:119]
	v_fma_f64 v[189:190], v[189:190], -0.5, v[112:113]
	v_add_f64_e64 v[185:186], v[96:97], -v[100:101]
	v_fma_f64 v[112:113], v[191:192], -0.5, v[112:113]
	;; [unrolled: 3-line block ×3, first 2 shown]
	v_add_f64_e64 v[199:200], v[100:101], -v[96:97]
	v_add_f64_e64 v[241:242], v[102:103], -v[98:99]
	v_add_f64_e32 v[144:145], v[158:159], v[144:145]
	v_add_f64_e32 v[158:159], v[170:171], v[175:176]
	;; [unrolled: 1-line block ×10, first 2 shown]
	v_fma_f64 v[179:180], v[162:163], s[14:15], v[156:157]
	v_fma_f64 v[156:157], v[162:163], s[16:17], v[156:157]
	;; [unrolled: 1-line block ×12, first 2 shown]
	v_add_f64_e32 v[211:212], v[211:212], v[213:214]
	v_add_f64_e32 v[213:214], v[215:216], v[217:218]
	;; [unrolled: 1-line block ×3, first 2 shown]
	v_fma_f64 v[205:206], v[124:125], s[16:17], v[181:182]
	v_fma_f64 v[181:182], v[124:125], s[14:15], v[181:182]
	;; [unrolled: 1-line block ×12, first 2 shown]
	v_add_f64_e32 v[168:169], v[126:127], v[168:169]
	v_add_f64_e32 v[185:186], v[231:232], v[185:186]
	;; [unrolled: 1-line block ×11, first 2 shown]
	v_fma_f64 v[104:105], v[166:167], s[2:3], v[179:180]
	s_wait_alu 0xfffe
	v_fma_f64 v[106:107], v[166:167], s[10:11], v[156:157]
	v_fma_f64 v[132:133], v[162:163], s[2:3], v[183:184]
	v_fma_f64 v[120:121], v[162:163], s[10:11], v[120:121]
	v_fma_f64 v[134:135], v[193:194], s[10:11], v[187:188]
	v_fma_f64 v[144:145], v[193:194], s[2:3], v[164:165]
	v_fma_f64 v[146:147], v[148:149], s[10:11], v[197:198]
	v_fma_f64 v[122:123], v[148:149], s[2:3], v[122:123]
	v_fma_f64 v[148:149], v[209:210], s[2:3], v[201:202]
	v_fma_f64 v[156:157], v[209:210], s[10:11], v[173:174]
	v_fma_f64 v[166:167], v[207:208], s[2:3], v[203:204]
	v_fma_f64 v[116:117], v[207:208], s[10:11], v[116:117]
	v_fma_f64 v[173:174], v[221:222], s[10:11], v[205:206]
	v_fma_f64 v[179:180], v[221:222], s[2:3], v[181:182]
	v_fma_f64 v[181:182], v[124:125], s[10:11], v[219:220]
	v_fma_f64 v[118:119], v[124:125], s[2:3], v[118:119]
	v_fma_f64 v[183:184], v[177:178], s[2:3], v[223:224]
	v_fma_f64 v[177:178], v[177:178], s[10:11], v[189:190]
	v_fma_f64 v[187:188], v[229:230], s[2:3], v[225:226]
	v_fma_f64 v[189:190], v[229:230], s[10:11], v[112:113]
	v_fma_f64 v[193:194], v[195:196], s[10:11], v[243:244]
	v_fma_f64 v[191:192], v[195:196], s[2:3], v[191:192]
	v_fma_f64 v[195:196], v[108:109], s[10:11], v[245:246]
	v_fma_f64 v[108:109], v[108:109], s[2:3], v[114:115]
	s_mov_b32 s2, 0x372fe950
	s_mov_b32 s3, 0x3fd3c6ef
	v_add_f64_e32 v[112:113], v[126:127], v[152:153]
	v_add_f64_e32 v[114:115], v[140:141], v[154:155]
	;; [unrolled: 1-line block ×6, first 2 shown]
	s_wait_alu 0xfffe
	v_fma_f64 v[124:125], v[158:159], s[2:3], v[104:105]
	v_fma_f64 v[136:137], v[158:159], s[2:3], v[106:107]
	;; [unrolled: 1-line block ×24, first 2 shown]
	s_wait_loadcnt 0x0
	v_lshl_add_u32 v237, v13, 4, v8
	v_add_nc_u32_e32 v8, v255, v8
	ds_store_b128 v237, v[124:127] offset:2992
	ds_store_b128 v237, v[128:131] offset:5984
	;; [unrolled: 1-line block ×4, first 2 shown]
	ds_store_b128 v237, v[112:115]
	ds_store_b128 v237, v[140:143] offset:1360
	ds_store_b128 v8, v[148:151] offset:4352
	;; [unrolled: 1-line block ×4, first 2 shown]
	scratch_store_b32 off, v8, off offset:12 ; 4-byte Folded Spill
	ds_store_b128 v8, v[164:167] offset:13328
	s_and_saveexec_b32 s1, s0
	s_cbranch_execz .LBB0_11
; %bb.10:
	ds_store_b128 v237, v[160:163] offset:2720
	ds_store_b128 v237, v[168:171] offset:5712
	;; [unrolled: 1-line block ×5, first 2 shown]
.LBB0_11:
	s_wait_alu 0xfffe
	s_or_b32 exec_lo, exec_lo, s1
	global_wb scope:SCOPE_SE
	s_wait_storecnt_dscnt 0x0
	s_barrier_signal -1
	s_barrier_wait -1
	global_inv scope:SCOPE_SE
	s_and_saveexec_b32 s1, vcc_lo
	s_cbranch_execz .LBB0_13
; %bb.12:
	global_load_b128 v[96:99], v255, s[8:9] offset:14960
	s_add_nc_u64 s[2:3], s[8:9], 0x3a70
	s_clause 0x4
	global_load_b128 v[100:103], v255, s[2:3] offset:880
	global_load_b128 v[104:107], v255, s[2:3] offset:1760
	global_load_b128 v[108:111], v255, s[2:3] offset:2640
	global_load_b128 v[173:176], v255, s[2:3] offset:3520
	global_load_b128 v[181:184], v255, s[2:3] offset:4400
	ds_load_b128 v[177:180], v237
	ds_load_b128 v[197:200], v237 offset:7040
	ds_load_b128 v[247:250], v237 offset:14080
	;; [unrolled: 1-line block ×9, first 2 shown]
	s_wait_loadcnt_dscnt 0x509
	v_mul_f64_e32 v[185:186], v[179:180], v[98:99]
	v_mul_f64_e32 v[98:99], v[177:178], v[98:99]
	s_delay_alu instid0(VALU_DEP_2) | instskip(NEXT) | instid1(VALU_DEP_2)
	v_fma_f64 v[177:178], v[177:178], v[96:97], -v[185:186]
	v_fma_f64 v[179:180], v[179:180], v[96:97], v[98:99]
	ds_load_b128 v[96:99], v237 offset:880
	s_wait_loadcnt_dscnt 0x400
	v_mul_f64_e32 v[185:186], v[98:99], v[102:103]
	v_mul_f64_e32 v[102:103], v[96:97], v[102:103]
	s_delay_alu instid0(VALU_DEP_2) | instskip(NEXT) | instid1(VALU_DEP_2)
	v_fma_f64 v[96:97], v[96:97], v[100:101], -v[185:186]
	v_fma_f64 v[98:99], v[98:99], v[100:101], v[102:103]
	ds_load_b128 v[100:103], v237 offset:1760
	;; [unrolled: 7-line block ×5, first 2 shown]
	s_wait_loadcnt_dscnt 0x0
	v_mul_f64_e32 v[185:186], v[175:176], v[183:184]
	v_mul_f64_e32 v[183:184], v[173:174], v[183:184]
	s_delay_alu instid0(VALU_DEP_2) | instskip(NEXT) | instid1(VALU_DEP_2)
	v_fma_f64 v[173:174], v[173:174], v[181:182], -v[185:186]
	v_fma_f64 v[175:176], v[175:176], v[181:182], v[183:184]
	global_load_b128 v[181:184], v255, s[2:3] offset:5280
	ds_load_b128 v[185:188], v237 offset:5280
	s_wait_loadcnt_dscnt 0x0
	v_mul_f64_e32 v[189:190], v[187:188], v[183:184]
	v_mul_f64_e32 v[191:192], v[185:186], v[183:184]
	s_delay_alu instid0(VALU_DEP_2) | instskip(NEXT) | instid1(VALU_DEP_2)
	v_fma_f64 v[183:184], v[185:186], v[181:182], -v[189:190]
	v_fma_f64 v[185:186], v[187:188], v[181:182], v[191:192]
	global_load_b128 v[187:190], v255, s[2:3] offset:6160
	ds_load_b128 v[191:194], v237 offset:6160
	s_wait_loadcnt_dscnt 0x0
	v_mul_f64_e32 v[181:182], v[193:194], v[189:190]
	v_mul_f64_e32 v[195:196], v[191:192], v[189:190]
	s_delay_alu instid0(VALU_DEP_2) | instskip(NEXT) | instid1(VALU_DEP_2)
	v_fma_f64 v[189:190], v[191:192], v[187:188], -v[181:182]
	v_fma_f64 v[191:192], v[193:194], v[187:188], v[195:196]
	global_load_b128 v[193:196], v255, s[2:3] offset:7040
	s_wait_loadcnt 0x0
	v_mul_f64_e32 v[181:182], v[199:200], v[195:196]
	v_mul_f64_e32 v[187:188], v[197:198], v[195:196]
	s_delay_alu instid0(VALU_DEP_2) | instskip(NEXT) | instid1(VALU_DEP_2)
	v_fma_f64 v[195:196], v[197:198], v[193:194], -v[181:182]
	v_fma_f64 v[197:198], v[199:200], v[193:194], v[187:188]
	global_load_b128 v[199:202], v255, s[2:3] offset:7920
	s_wait_loadcnt 0x0
	;; [unrolled: 7-line block ×9, first 2 shown]
	v_mul_f64_e32 v[181:182], v[249:250], v[231:232]
	v_mul_f64_e32 v[187:188], v[247:248], v[231:232]
	s_delay_alu instid0(VALU_DEP_2) | instskip(NEXT) | instid1(VALU_DEP_2)
	v_fma_f64 v[247:248], v[247:248], v[229:230], -v[181:182]
	v_fma_f64 v[249:250], v[249:250], v[229:230], v[187:188]
	ds_store_b128 v237, v[177:180]
	ds_store_b128 v237, v[96:99] offset:880
	ds_store_b128 v237, v[100:103] offset:1760
	;; [unrolled: 1-line block ×16, first 2 shown]
.LBB0_13:
	s_wait_alu 0xfffe
	s_or_b32 exec_lo, exec_lo, s1
	global_wb scope:SCOPE_SE
	s_wait_dscnt 0x0
	s_barrier_signal -1
	s_barrier_wait -1
	global_inv scope:SCOPE_SE
	s_and_saveexec_b32 s1, vcc_lo
	s_cbranch_execz .LBB0_15
; %bb.14:
	ds_load_b128 v[112:115], v237
	ds_load_b128 v[124:127], v237 offset:880
	ds_load_b128 v[128:131], v237 offset:1760
	ds_load_b128 v[132:135], v237 offset:2640
	ds_load_b128 v[136:139], v237 offset:3520
	ds_load_b128 v[140:143], v237 offset:4400
	ds_load_b128 v[148:151], v237 offset:5280
	ds_load_b128 v[152:155], v237 offset:6160
	ds_load_b128 v[156:159], v237 offset:7040
	ds_load_b128 v[164:167], v237 offset:7920
	ds_load_b128 v[160:163], v237 offset:8800
	ds_load_b128 v[168:171], v237 offset:9680
	ds_load_b128 v[144:147], v237 offset:10560
	ds_load_b128 v[120:123], v237 offset:11440
	ds_load_b128 v[116:119], v237 offset:12320
	ds_load_b128 v[4:7], v237 offset:13200
	ds_load_b128 v[0:3], v237 offset:14080
.LBB0_15:
	s_wait_alu 0xfffe
	s_or_b32 exec_lo, exec_lo, s1
	s_wait_dscnt 0x0
	v_add_f64_e64 v[225:226], v[126:127], -v[2:3]
	s_mov_b32 s10, 0x7c9e640b
	s_mov_b32 s11, 0xbfeca52d
	v_add_f64_e32 v[223:224], v[124:125], v[0:1]
	v_add_f64_e64 v[175:176], v[130:131], -v[6:7]
	s_mov_b32 s2, 0x2b2883cd
	s_mov_b32 s16, 0x6c9a05f6
	;; [unrolled: 1-line block ×4, first 2 shown]
	v_add_f64_e32 v[173:174], v[128:129], v[4:5]
	v_add_f64_e32 v[249:250], v[126:127], v[2:3]
	s_mov_b32 s14, 0x6ed5f1bb
	s_mov_b32 s15, 0xbfe348c8
	v_add_f64_e64 v[251:252], v[124:125], -v[0:1]
	v_add_f64_e32 v[177:178], v[130:131], v[6:7]
	v_add_f64_e64 v[183:184], v[128:129], -v[4:5]
	v_add_f64_e64 v[181:182], v[134:135], -v[118:119]
	s_mov_b32 s20, 0xacd6c6b4
	s_mov_b32 s21, 0xbfc7851a
	s_wait_alu 0xfffe
	s_mov_b32 s44, s20
	v_add_f64_e32 v[179:180], v[132:133], v[116:117]
	v_add_f64_e32 v[185:186], v[134:135], v[118:119]
	s_mov_b32 s18, 0x7faef3
	s_mov_b32 s19, 0xbfef7484
	v_add_f64_e64 v[191:192], v[132:133], -v[116:117]
	v_add_f64_e64 v[189:190], v[138:139], -v[122:123]
	s_mov_b32 s24, 0x923c349f
	s_mov_b32 s25, 0xbfeec746
	s_mov_b32 s39, 0x3feec746
	s_wait_alu 0xfffe
	s_mov_b32 s38, s24
	v_add_f64_e32 v[187:188], v[136:137], v[120:121]
	v_add_f64_e32 v[193:194], v[138:139], v[122:123]
	s_mov_b32 s22, 0xc61f0d01
	s_mov_b32 s23, 0xbfd183b1
	v_add_f64_e64 v[199:200], v[136:137], -v[120:121]
	v_add_f64_e64 v[197:198], v[142:143], -v[146:147]
	s_mov_b32 s34, 0x2a9d6da3
	s_mov_b32 s35, 0x3fe58eea
	v_mul_f64_e32 v[8:9], s[10:11], v[225:226]
	v_add_f64_e32 v[195:196], v[140:141], v[144:145]
	s_mov_b32 s26, 0x75d4884
	s_mov_b32 s27, 0x3fe7a5f6
	v_mul_f64_e32 v[16:17], s[16:17], v[175:176]
	v_mul_f64_e32 v[102:103], s[20:21], v[175:176]
	v_add_f64_e32 v[201:202], v[142:143], v[146:147]
	v_add_f64_e64 v[211:212], v[140:141], -v[144:145]
	s_mov_b32 s52, 0x4363dd80
	s_mov_b32 s53, 0x3fe0d888
	v_mul_f64_e32 v[10:11], s[2:3], v[249:250]
	v_add_f64_e64 v[207:208], v[150:151], -v[170:171]
	s_wait_alu 0xfffe
	v_mul_f64_e32 v[106:107], s[52:53], v[175:176]
	s_mov_b32 s46, 0x5d8e7cdc
	v_mul_f64_e32 v[18:19], s[14:15], v[177:178]
	s_mov_b32 s47, 0xbfd71e95
	v_mul_f64_e32 v[20:21], s[44:45], v[181:182]
	v_add_f64_e32 v[203:204], v[148:149], v[168:169]
	s_mov_b32 s36, 0x370991
	s_mov_b32 s37, 0x3fedd6d0
	v_add_f64_e32 v[205:206], v[150:151], v[170:171]
	v_mul_f64_e32 v[104:105], s[18:19], v[177:178]
	v_add_f64_e64 v[221:222], v[148:149], -v[168:169]
	v_add_f64_e64 v[217:218], v[154:155], -v[162:163]
	v_mul_f64_e32 v[110:111], s[38:39], v[175:176]
	v_mul_f64_e32 v[22:23], s[38:39], v[189:190]
	s_mov_b32 s40, 0xeb564b22
	s_mov_b32 s41, 0xbfefdd0d
	v_add_f64_e32 v[209:210], v[152:153], v[160:161]
	s_mov_b32 s28, 0x3259b75e
	s_mov_b32 s30, 0x910ea3b9
	v_mul_f64_e32 v[14:15], s[22:23], v[193:194]
	s_mov_b32 s29, 0x3fb79ee6
	s_mov_b32 s31, 0xbfeb34fa
	v_add_f64_e32 v[215:216], v[154:155], v[162:163]
	v_mul_f64_e32 v[12:13], s[34:35], v[197:198]
	s_wait_alu 0xfffe
	v_mul_f64_e32 v[108:109], s[30:31], v[177:178]
	v_add_f64_e64 v[229:230], v[152:153], -v[160:161]
	v_fma_f64 v[96:97], v[223:224], s[2:3], -v[8:9]
	v_add_f64_e64 v[231:232], v[158:159], -v[166:167]
	s_mov_b32 s43, 0xbfe0d888
	s_mov_b32 s42, s52
	v_fma_f64 v[98:99], v[173:174], s[14:15], -v[16:17]
	v_add_f64_e32 v[219:220], v[156:157], v[164:165]
	v_add_f64_e32 v[227:228], v[158:159], v[166:167]
	v_mul_f64_e32 v[238:239], s[22:23], v[177:178]
	v_add_f64_e64 v[235:236], v[156:157], -v[164:165]
	v_mul_f64_e32 v[241:242], s[40:41], v[225:226]
	s_clause 0x1
	scratch_store_b64 off, v[10:11], off offset:84
	scratch_store_b64 off, v[102:103], off offset:140
	v_fma_f64 v[102:103], v[173:174], s[18:19], -v[102:103]
	v_mul_f64_e32 v[243:244], s[28:29], v[249:250]
	v_fma_f64 v[100:101], v[183:184], s[16:17], v[18:19]
	s_mov_b32 s57, 0x3fd71e95
	s_mov_b32 s56, s46
	;; [unrolled: 1-line block ×4, first 2 shown]
	v_mul_f64_e32 v[245:246], s[24:25], v[225:226]
	v_mul_f64_e32 v[247:248], s[22:23], v[249:250]
	scratch_store_b64 off, v[104:105], off offset:164 ; 8-byte Folded Spill
	v_fma_f64 v[104:105], v[183:184], s[20:21], v[104:105]
	s_mov_b32 s55, 0x3fefdd0d
	s_mov_b32 s54, s40
	v_mul_f64_e32 v[253:254], s[16:17], v[225:226]
	v_mul_f64_e32 v[213:214], s[14:15], v[249:250]
	s_mov_b32 s51, 0xbfe58eea
	s_mov_b32 s50, s34
	;; [unrolled: 1-line block ×4, first 2 shown]
	scratch_store_b64 off, v[106:107], off offset:172 ; 8-byte Folded Spill
	v_fma_f64 v[106:107], v[173:174], s[30:31], -v[106:107]
	scratch_store_b64 off, v[110:111], off offset:244 ; 8-byte Folded Spill
	v_fma_f64 v[110:111], v[173:174], s[22:23], -v[110:111]
	scratch_store_b64 off, v[108:109], off offset:220 ; 8-byte Folded Spill
	v_fma_f64 v[108:109], v[183:184], s[52:53], v[108:109]
	v_add_f64_e32 v[96:97], v[112:113], v[96:97]
	scratch_store_b64 off, v[238:239], off offset:332 ; 8-byte Folded Spill
	v_fma_f64 v[239:240], v[183:184], s[38:39], v[238:239]
	v_add_f64_e32 v[96:97], v[98:99], v[96:97]
	v_fma_f64 v[98:99], v[251:252], s[10:11], v[10:11]
	v_mul_f64_e32 v[10:11], s[18:19], v[185:186]
	s_delay_alu instid0(VALU_DEP_2) | instskip(NEXT) | instid1(VALU_DEP_1)
	v_add_f64_e32 v[98:99], v[114:115], v[98:99]
	v_add_f64_e32 v[98:99], v[100:101], v[98:99]
	v_fma_f64 v[100:101], v[179:180], s[18:19], -v[20:21]
	s_delay_alu instid0(VALU_DEP_1) | instskip(SKIP_1) | instid1(VALU_DEP_1)
	v_add_f64_e32 v[96:97], v[100:101], v[96:97]
	v_fma_f64 v[100:101], v[191:192], s[44:45], v[10:11]
	v_add_f64_e32 v[98:99], v[100:101], v[98:99]
	v_fma_f64 v[100:101], v[187:188], s[22:23], -v[22:23]
	s_delay_alu instid0(VALU_DEP_1) | instskip(SKIP_1) | instid1(VALU_DEP_1)
	v_add_f64_e32 v[96:97], v[100:101], v[96:97]
	v_fma_f64 v[100:101], v[199:200], s[38:39], v[14:15]
	v_add_f64_e32 v[98:99], v[100:101], v[98:99]
	v_fma_f64 v[100:101], v[195:196], s[26:27], -v[12:13]
	s_delay_alu instid0(VALU_DEP_1) | instskip(SKIP_3) | instid1(VALU_DEP_1)
	v_add_f64_e32 v[96:97], v[100:101], v[96:97]
	v_mul_f64_e32 v[100:101], s[26:27], v[201:202]
	scratch_store_b64 off, v[100:101], off offset:100 ; 8-byte Folded Spill
	v_fma_f64 v[100:101], v[211:212], s[34:35], v[100:101]
	v_add_f64_e32 v[98:99], v[100:101], v[98:99]
	v_mul_f64_e32 v[100:101], s[46:47], v[207:208]
	scratch_store_b64 off, v[100:101], off offset:92 ; 8-byte Folded Spill
	v_fma_f64 v[100:101], v[203:204], s[36:37], -v[100:101]
	s_delay_alu instid0(VALU_DEP_1) | instskip(SKIP_3) | instid1(VALU_DEP_1)
	v_add_f64_e32 v[96:97], v[100:101], v[96:97]
	v_mul_f64_e32 v[100:101], s[36:37], v[205:206]
	scratch_store_b64 off, v[100:101], off offset:116 ; 8-byte Folded Spill
	v_fma_f64 v[100:101], v[221:222], s[46:47], v[100:101]
	v_add_f64_e32 v[98:99], v[100:101], v[98:99]
	v_mul_f64_e32 v[100:101], s[40:41], v[217:218]
	scratch_store_b64 off, v[100:101], off offset:108 ; 8-byte Folded Spill
	v_fma_f64 v[100:101], v[209:210], s[28:29], -v[100:101]
	s_delay_alu instid0(VALU_DEP_1) | instskip(SKIP_3) | instid1(VALU_DEP_1)
	v_add_f64_e32 v[96:97], v[100:101], v[96:97]
	v_mul_f64_e32 v[100:101], s[28:29], v[215:216]
	scratch_store_b64 off, v[100:101], off offset:132 ; 8-byte Folded Spill
	v_fma_f64 v[100:101], v[229:230], s[40:41], v[100:101]
	v_add_f64_e32 v[98:99], v[100:101], v[98:99]
	s_wait_alu 0xfffe
	v_mul_f64_e32 v[100:101], s[42:43], v[231:232]
	scratch_store_b64 off, v[100:101], off offset:124 ; 8-byte Folded Spill
	v_fma_f64 v[100:101], v[219:220], s[30:31], -v[100:101]
	s_delay_alu instid0(VALU_DEP_1) | instskip(SKIP_3) | instid1(VALU_DEP_1)
	v_add_f64_e32 v[96:97], v[100:101], v[96:97]
	v_mul_f64_e32 v[100:101], s[30:31], v[227:228]
	scratch_store_b64 off, v[100:101], off offset:180 ; 8-byte Folded Spill
	v_fma_f64 v[100:101], v[235:236], s[42:43], v[100:101]
	v_add_f64_e32 v[98:99], v[100:101], v[98:99]
	v_fma_f64 v[100:101], v[223:224], s[28:29], -v[241:242]
	s_delay_alu instid0(VALU_DEP_1) | instskip(NEXT) | instid1(VALU_DEP_1)
	v_add_f64_e32 v[100:101], v[112:113], v[100:101]
	v_add_f64_e32 v[100:101], v[102:103], v[100:101]
	v_fma_f64 v[102:103], v[251:252], s[40:41], v[243:244]
	s_delay_alu instid0(VALU_DEP_1) | instskip(NEXT) | instid1(VALU_DEP_1)
	v_add_f64_e32 v[102:103], v[114:115], v[102:103]
	v_add_f64_e32 v[102:103], v[104:105], v[102:103]
	v_mul_f64_e32 v[104:105], s[38:39], v[181:182]
	scratch_store_b64 off, v[104:105], off offset:148 ; 8-byte Folded Spill
	v_fma_f64 v[104:105], v[179:180], s[22:23], -v[104:105]
	s_delay_alu instid0(VALU_DEP_1) | instskip(SKIP_3) | instid1(VALU_DEP_1)
	v_add_f64_e32 v[100:101], v[104:105], v[100:101]
	v_mul_f64_e32 v[104:105], s[22:23], v[185:186]
	scratch_store_b64 off, v[104:105], off offset:188 ; 8-byte Folded Spill
	v_fma_f64 v[104:105], v[191:192], s[38:39], v[104:105]
	v_add_f64_e32 v[102:103], v[104:105], v[102:103]
	v_mul_f64_e32 v[104:105], s[56:57], v[189:190]
	scratch_store_b64 off, v[104:105], off offset:156 ; 8-byte Folded Spill
	v_fma_f64 v[104:105], v[187:188], s[36:37], -v[104:105]
	s_delay_alu instid0(VALU_DEP_1) | instskip(SKIP_3) | instid1(VALU_DEP_1)
	v_add_f64_e32 v[100:101], v[104:105], v[100:101]
	v_mul_f64_e32 v[104:105], s[36:37], v[193:194]
	scratch_store_b64 off, v[104:105], off offset:260 ; 8-byte Folded Spill
	v_fma_f64 v[104:105], v[199:200], s[56:57], v[104:105]
	v_add_f64_e32 v[102:103], v[104:105], v[102:103]
	v_mul_f64_e32 v[104:105], s[10:11], v[197:198]
	scratch_store_b64 off, v[104:105], off offset:228 ; 8-byte Folded Spill
	v_fma_f64 v[104:105], v[195:196], s[2:3], -v[104:105]
	s_delay_alu instid0(VALU_DEP_1) | instskip(SKIP_3) | instid1(VALU_DEP_1)
	v_add_f64_e32 v[100:101], v[104:105], v[100:101]
	v_mul_f64_e32 v[104:105], s[2:3], v[201:202]
	scratch_store_b64 off, v[104:105], off offset:340 ; 8-byte Folded Spill
	v_fma_f64 v[104:105], v[211:212], s[10:11], v[104:105]
	v_add_f64_e32 v[102:103], v[104:105], v[102:103]
	v_mul_f64_e32 v[104:105], s[42:43], v[207:208]
	scratch_store_b64 off, v[104:105], off offset:292 ; 8-byte Folded Spill
	v_fma_f64 v[104:105], v[203:204], s[30:31], -v[104:105]
	s_delay_alu instid0(VALU_DEP_1) | instskip(SKIP_3) | instid1(VALU_DEP_1)
	v_add_f64_e32 v[100:101], v[104:105], v[100:101]
	v_mul_f64_e32 v[104:105], s[30:31], v[205:206]
	scratch_store_b64 off, v[104:105], off offset:388 ; 8-byte Folded Spill
	v_fma_f64 v[104:105], v[221:222], s[42:43], v[104:105]
	v_add_f64_e32 v[102:103], v[104:105], v[102:103]
	v_mul_f64_e32 v[104:105], s[48:49], v[217:218]
	scratch_store_b64 off, v[104:105], off offset:204 ; 8-byte Folded Spill
	v_fma_f64 v[104:105], v[209:210], s[14:15], -v[104:105]
	s_delay_alu instid0(VALU_DEP_1) | instskip(SKIP_3) | instid1(VALU_DEP_1)
	v_add_f64_e32 v[100:101], v[104:105], v[100:101]
	v_mul_f64_e32 v[104:105], s[14:15], v[215:216]
	scratch_store_b64 off, v[104:105], off offset:268 ; 8-byte Folded Spill
	v_fma_f64 v[104:105], v[229:230], s[48:49], v[104:105]
	v_add_f64_e32 v[102:103], v[104:105], v[102:103]
	v_mul_f64_e32 v[104:105], s[34:35], v[231:232]
	scratch_store_b64 off, v[104:105], off offset:196 ; 8-byte Folded Spill
	v_fma_f64 v[104:105], v[219:220], s[26:27], -v[104:105]
	s_delay_alu instid0(VALU_DEP_1) | instskip(SKIP_3) | instid1(VALU_DEP_1)
	v_add_f64_e32 v[100:101], v[104:105], v[100:101]
	v_mul_f64_e32 v[104:105], s[26:27], v[227:228]
	scratch_store_b64 off, v[104:105], off offset:308 ; 8-byte Folded Spill
	v_fma_f64 v[104:105], v[235:236], s[34:35], v[104:105]
	v_add_f64_e32 v[102:103], v[104:105], v[102:103]
	v_fma_f64 v[104:105], v[223:224], s[22:23], -v[245:246]
	s_delay_alu instid0(VALU_DEP_1) | instskip(NEXT) | instid1(VALU_DEP_1)
	v_add_f64_e32 v[104:105], v[112:113], v[104:105]
	v_add_f64_e32 v[104:105], v[106:107], v[104:105]
	v_fma_f64 v[106:107], v[251:252], s[24:25], v[247:248]
	s_delay_alu instid0(VALU_DEP_1) | instskip(NEXT) | instid1(VALU_DEP_1)
	v_add_f64_e32 v[106:107], v[114:115], v[106:107]
	v_add_f64_e32 v[106:107], v[108:109], v[106:107]
	v_mul_f64_e32 v[108:109], s[34:35], v[181:182]
	scratch_store_b64 off, v[108:109], off offset:212 ; 8-byte Folded Spill
	v_fma_f64 v[108:109], v[179:180], s[26:27], -v[108:109]
	s_delay_alu instid0(VALU_DEP_1) | instskip(SKIP_3) | instid1(VALU_DEP_1)
	v_add_f64_e32 v[104:105], v[108:109], v[104:105]
	v_mul_f64_e32 v[108:109], s[26:27], v[185:186]
	scratch_store_b64 off, v[108:109], off offset:284 ; 8-byte Folded Spill
	v_fma_f64 v[108:109], v[191:192], s[34:35], v[108:109]
	v_add_f64_e32 v[106:107], v[108:109], v[106:107]
	v_mul_f64_e32 v[108:109], s[10:11], v[189:190]
	scratch_store_b64 off, v[108:109], off offset:236 ; 8-byte Folded Spill
	v_fma_f64 v[108:109], v[187:188], s[2:3], -v[108:109]
	s_delay_alu instid0(VALU_DEP_1) | instskip(SKIP_3) | instid1(VALU_DEP_1)
	v_add_f64_e32 v[104:105], v[108:109], v[104:105]
	v_mul_f64_e32 v[108:109], s[2:3], v[193:194]
	scratch_store_b64 off, v[108:109], off offset:356 ; 8-byte Folded Spill
	v_fma_f64 v[108:109], v[199:200], s[10:11], v[108:109]
	v_add_f64_e32 v[106:107], v[108:109], v[106:107]
	v_mul_f64_e32 v[108:109], s[20:21], v[197:198]
	scratch_store_b64 off, v[108:109], off offset:252 ; 8-byte Folded Spill
	v_fma_f64 v[108:109], v[195:196], s[18:19], -v[108:109]
	s_delay_alu instid0(VALU_DEP_1) | instskip(SKIP_3) | instid1(VALU_DEP_1)
	v_add_f64_e32 v[104:105], v[108:109], v[104:105]
	v_mul_f64_e32 v[108:109], s[18:19], v[201:202]
	scratch_store_b64 off, v[108:109], off offset:404 ; 8-byte Folded Spill
	v_fma_f64 v[108:109], v[211:212], s[20:21], v[108:109]
	v_add_f64_e32 v[106:107], v[108:109], v[106:107]
	v_mul_f64_e32 v[108:109], s[54:55], v[207:208]
	scratch_store_b64 off, v[108:109], off offset:276 ; 8-byte Folded Spill
	v_fma_f64 v[108:109], v[203:204], s[28:29], -v[108:109]
	s_delay_alu instid0(VALU_DEP_1) | instskip(SKIP_3) | instid1(VALU_DEP_1)
	v_add_f64_e32 v[104:105], v[108:109], v[104:105]
	v_mul_f64_e32 v[108:109], s[28:29], v[205:206]
	scratch_store_b64 off, v[108:109], off offset:428 ; 8-byte Folded Spill
	v_fma_f64 v[108:109], v[221:222], s[54:55], v[108:109]
	v_add_f64_e32 v[106:107], v[108:109], v[106:107]
	v_mul_f64_e32 v[108:109], s[46:47], v[217:218]
	scratch_store_b64 off, v[108:109], off offset:300 ; 8-byte Folded Spill
	v_fma_f64 v[108:109], v[209:210], s[36:37], -v[108:109]
	s_delay_alu instid0(VALU_DEP_1) | instskip(SKIP_3) | instid1(VALU_DEP_1)
	v_add_f64_e32 v[104:105], v[108:109], v[104:105]
	v_mul_f64_e32 v[108:109], s[36:37], v[215:216]
	scratch_store_b64 off, v[108:109], off offset:444 ; 8-byte Folded Spill
	v_fma_f64 v[108:109], v[229:230], s[46:47], v[108:109]
	v_add_f64_e32 v[106:107], v[108:109], v[106:107]
	;; [unrolled: 62-line block ×3, first 2 shown]
	v_mul_f64_e32 v[238:239], s[58:59], v[231:232]
	scratch_store_b64 off, v[238:239], off offset:412 ; 8-byte Folded Spill
	v_fma_f64 v[239:240], v[219:220], s[2:3], -v[238:239]
	s_delay_alu instid0(VALU_DEP_1)
	v_add_f64_e32 v[108:109], v[239:240], v[108:109]
	v_mul_f64_e32 v[238:239], s[2:3], v[227:228]
	scratch_store_b64 off, v[238:239], off offset:476 ; 8-byte Folded Spill
	v_fma_f64 v[238:239], v[235:236], s[58:59], v[238:239]
	global_wb scope:SCOPE_SE
	s_wait_storecnt 0x0
	s_barrier_signal -1
	s_barrier_wait -1
	global_inv scope:SCOPE_SE
	v_add_f64_e32 v[110:111], v[238:239], v[110:111]
	s_and_saveexec_b32 s1, vcc_lo
	s_cbranch_execz .LBB0_17
; %bb.16:
	v_add_f64_e32 v[126:127], v[114:115], v[126:127]
	v_add_f64_e32 v[124:125], v[112:113], v[124:125]
	s_delay_alu instid0(VALU_DEP_2) | instskip(NEXT) | instid1(VALU_DEP_2)
	v_add_f64_e32 v[126:127], v[126:127], v[130:131]
	v_add_f64_e32 v[124:125], v[124:125], v[128:129]
	v_mul_f64_e32 v[128:129], s[20:21], v[251:252]
	v_mul_f64_e32 v[130:131], s[42:43], v[251:252]
	s_delay_alu instid0(VALU_DEP_4) | instskip(NEXT) | instid1(VALU_DEP_4)
	v_add_f64_e32 v[126:127], v[126:127], v[134:135]
	v_add_f64_e32 v[124:125], v[124:125], v[132:133]
	v_mul_f64_e32 v[134:135], s[46:47], v[251:252]
	v_mul_f64_e32 v[132:133], s[50:51], v[251:252]
	s_delay_alu instid0(VALU_DEP_4) | instskip(NEXT) | instid1(VALU_DEP_4)
	v_add_f64_e32 v[126:127], v[126:127], v[138:139]
	v_add_f64_e32 v[124:125], v[124:125], v[136:137]
	v_fma_f64 v[136:137], v[249:250], s[18:19], v[128:129]
	v_fma_f64 v[128:129], v[249:250], s[18:19], -v[128:129]
	v_fma_f64 v[138:139], v[249:250], s[30:31], v[130:131]
	v_fma_f64 v[130:131], v[249:250], s[30:31], -v[130:131]
	v_add_f64_e32 v[126:127], v[126:127], v[142:143]
	v_add_f64_e32 v[124:125], v[124:125], v[140:141]
	v_fma_f64 v[142:143], v[249:250], s[36:37], v[134:135]
	v_fma_f64 v[140:141], v[249:250], s[26:27], v[132:133]
	v_fma_f64 v[132:133], v[249:250], s[26:27], -v[132:133]
	v_fma_f64 v[134:135], v[249:250], s[36:37], -v[134:135]
	v_add_f64_e32 v[136:137], v[114:115], v[136:137]
	v_add_f64_e32 v[128:129], v[114:115], v[128:129]
	;; [unrolled: 1-line block ×4, first 2 shown]
	v_mul_f64_e32 v[148:149], s[50:51], v[225:226]
	v_mul_f64_e32 v[150:151], s[46:47], v[225:226]
	s_delay_alu instid0(VALU_DEP_4) | instskip(NEXT) | instid1(VALU_DEP_4)
	v_add_f64_e32 v[126:127], v[126:127], v[154:155]
	v_add_f64_e32 v[124:125], v[124:125], v[152:153]
	s_delay_alu instid0(VALU_DEP_2) | instskip(NEXT) | instid1(VALU_DEP_2)
	v_add_f64_e32 v[126:127], v[126:127], v[158:159]
	v_add_f64_e32 v[124:125], v[124:125], v[156:157]
	v_fma_f64 v[156:157], v[223:224], s[26:27], -v[148:149]
	v_fma_f64 v[148:149], v[223:224], s[26:27], v[148:149]
	v_fma_f64 v[158:159], v[223:224], s[36:37], -v[150:151]
	v_fma_f64 v[150:151], v[223:224], s[36:37], v[150:151]
	v_add_f64_e32 v[126:127], v[126:127], v[166:167]
	v_add_f64_e32 v[124:125], v[124:125], v[164:165]
	;; [unrolled: 1-line block ×3, first 2 shown]
	s_delay_alu instid0(VALU_DEP_4) | instskip(NEXT) | instid1(VALU_DEP_4)
	v_add_f64_e32 v[150:151], v[112:113], v[150:151]
	v_add_f64_e32 v[126:127], v[126:127], v[162:163]
	s_delay_alu instid0(VALU_DEP_4) | instskip(SKIP_2) | instid1(VALU_DEP_4)
	v_add_f64_e32 v[124:125], v[124:125], v[160:161]
	v_add_f64_e32 v[160:161], v[114:115], v[138:139]
	;; [unrolled: 1-line block ×4, first 2 shown]
	s_delay_alu instid0(VALU_DEP_4) | instskip(NEXT) | instid1(VALU_DEP_2)
	v_add_f64_e32 v[124:125], v[124:125], v[168:169]
	v_add_f64_e32 v[126:127], v[126:127], v[146:147]
	s_delay_alu instid0(VALU_DEP_2) | instskip(SKIP_2) | instid1(VALU_DEP_4)
	v_add_f64_e32 v[124:125], v[124:125], v[144:145]
	v_mul_f64_e32 v[144:145], s[20:21], v[225:226]
	v_mul_f64_e32 v[146:147], s[42:43], v[225:226]
	v_add_f64_e32 v[122:123], v[126:127], v[122:123]
	scratch_load_b64 v[126:127], off, off offset:84 th:TH_LOAD_LU ; 8-byte Folded Reload
	v_add_f64_e32 v[120:121], v[124:125], v[120:121]
	v_mul_f64_e32 v[124:125], s[10:11], v[251:252]
	v_fma_f64 v[152:153], v[223:224], s[18:19], -v[144:145]
	v_fma_f64 v[144:145], v[223:224], s[18:19], v[144:145]
	v_fma_f64 v[154:155], v[223:224], s[30:31], -v[146:147]
	v_fma_f64 v[146:147], v[223:224], s[30:31], v[146:147]
	v_add_f64_e32 v[118:119], v[122:123], v[118:119]
	v_mul_f64_e32 v[122:123], s[28:29], v[223:224]
	v_add_f64_e32 v[116:117], v[120:121], v[116:117]
	v_mul_f64_e32 v[120:121], s[40:41], v[251:252]
	v_add_f64_e32 v[152:153], v[112:113], v[152:153]
	v_add_f64_e32 v[144:145], v[112:113], v[144:145]
	;; [unrolled: 1-line block ×5, first 2 shown]
	v_mul_f64_e32 v[118:119], s[22:23], v[223:224]
	v_add_f64_e32 v[4:5], v[116:117], v[4:5]
	v_add_f64_e32 v[122:123], v[122:123], v[241:242]
	v_mul_f64_e32 v[116:117], s[24:25], v[251:252]
	v_add_f64_e64 v[120:121], v[243:244], -v[120:121]
	v_mul_f64_e32 v[242:243], s[54:55], v[235:236]
	v_add_f64_e32 v[2:3], v[6:7], v[2:3]
	v_mul_f64_e32 v[6:7], s[14:15], v[223:224]
	v_add_f64_e32 v[0:1], v[4:5], v[0:1]
	;; [unrolled: 2-line block ×3, first 2 shown]
	v_add_f64_e32 v[170:171], v[112:113], v[122:123]
	v_add_f64_e64 v[116:117], v[247:248], -v[116:117]
	v_add_f64_e32 v[168:169], v[114:115], v[120:121]
	v_mul_f64_e32 v[244:245], s[54:55], v[231:232]
	v_mul_f64_e32 v[246:247], s[52:53], v[197:198]
	;; [unrolled: 1-line block ×4, first 2 shown]
	v_add_f64_e32 v[6:7], v[6:7], v[253:254]
	v_mul_f64_e32 v[252:253], s[58:59], v[229:230]
	v_add_f64_e64 v[4:5], v[213:214], -v[4:5]
	v_add_f64_e32 v[166:167], v[112:113], v[118:119]
	v_add_f64_e32 v[118:119], v[112:113], v[148:149]
	;; [unrolled: 1-line block ×9, first 2 shown]
	scratch_store_b64 off, v[4:5], off offset:84 ; 8-byte Folded Spill
	v_add_f64_e32 v[4:5], v[112:113], v[158:159]
	scratch_store_b64 off, v[4:5], off offset:484 ; 8-byte Folded Spill
	s_wait_loadcnt 0x0
	v_add_f64_e64 v[124:125], v[126:127], -v[124:125]
	v_mul_f64_e32 v[126:127], s[2:3], v[223:224]
	s_delay_alu instid0(VALU_DEP_2) | instskip(NEXT) | instid1(VALU_DEP_2)
	v_add_f64_e32 v[120:121], v[114:115], v[124:125]
	v_add_f64_e32 v[126:127], v[126:127], v[8:9]
	v_mul_f64_e32 v[124:125], s[42:43], v[191:192]
	v_mul_f64_e32 v[114:115], s[56:57], v[175:176]
	v_mul_f64_e32 v[8:9], s[58:59], v[217:218]
	s_delay_alu instid0(VALU_DEP_4)
	v_add_f64_e32 v[122:123], v[112:113], v[126:127]
	v_mul_f64_e32 v[112:113], s[56:57], v[183:184]
	v_fma_f64 v[126:127], v[185:186], s[30:31], v[124:125]
	v_fma_f64 v[6:7], v[173:174], s[36:37], -v[114:115]
	v_fma_f64 v[114:115], v[173:174], s[36:37], v[114:115]
	v_fma_f64 v[124:125], v[185:186], s[30:31], -v[124:125]
	;; [unrolled: 2-line block ×3, first 2 shown]
	v_add_f64_e32 v[6:7], v[6:7], v[152:153]
	v_add_f64_e32 v[114:115], v[114:115], v[144:145]
	v_mul_f64_e32 v[144:145], s[40:41], v[183:184]
	v_add_f64_e32 v[4:5], v[4:5], v[136:137]
	v_add_f64_e32 v[112:113], v[112:113], v[128:129]
	v_dual_mov_b32 v129, v15 :: v_dual_mov_b32 v128, v14
	s_delay_alu instid0(VALU_DEP_3) | instskip(SKIP_1) | instid1(VALU_DEP_4)
	v_add_f64_e32 v[4:5], v[126:127], v[4:5]
	v_mul_f64_e32 v[126:127], s[42:43], v[181:182]
	v_add_f64_e32 v[112:113], v[124:125], v[112:113]
	s_delay_alu instid0(VALU_DEP_2) | instskip(SKIP_2) | instid1(VALU_DEP_3)
	v_fma_f64 v[132:133], v[179:180], s[30:31], -v[126:127]
	v_fma_f64 v[124:125], v[179:180], s[30:31], v[126:127]
	v_fma_f64 v[126:127], v[219:220], s[28:29], v[244:245]
	v_add_f64_e32 v[6:7], v[132:133], v[6:7]
	v_mul_f64_e32 v[132:133], s[34:35], v[199:200]
	s_delay_alu instid0(VALU_DEP_4) | instskip(NEXT) | instid1(VALU_DEP_2)
	v_add_f64_e32 v[114:115], v[124:125], v[114:115]
	v_fma_f64 v[134:135], v[193:194], s[26:27], v[132:133]
	v_fma_f64 v[124:125], v[193:194], s[26:27], -v[132:133]
	v_dual_mov_b32 v133, v11 :: v_dual_mov_b32 v132, v10
	v_fma_f64 v[10:11], v[209:210], s[2:3], v[8:9]
	v_fma_f64 v[8:9], v[209:210], s[2:3], -v[8:9]
	v_add_f64_e32 v[4:5], v[134:135], v[4:5]
	v_mul_f64_e32 v[134:135], s[34:35], v[189:190]
	v_add_f64_e32 v[112:113], v[124:125], v[112:113]
	s_delay_alu instid0(VALU_DEP_2) | instskip(SKIP_2) | instid1(VALU_DEP_3)
	v_fma_f64 v[136:137], v[187:188], s[26:27], -v[134:135]
	v_fma_f64 v[124:125], v[187:188], s[26:27], v[134:135]
	v_mul_f64_e32 v[134:135], s[36:37], v[203:204]
	v_add_f64_e32 v[6:7], v[136:137], v[6:7]
	v_mul_f64_e32 v[136:137], s[16:17], v[211:212]
	s_delay_alu instid0(VALU_DEP_4) | instskip(NEXT) | instid1(VALU_DEP_2)
	v_add_f64_e32 v[114:115], v[124:125], v[114:115]
	v_fma_f64 v[140:141], v[201:202], s[14:15], v[136:137]
	v_fma_f64 v[124:125], v[201:202], s[14:15], -v[136:137]
	v_mul_f64_e32 v[136:137], s[26:27], v[195:196]
	s_delay_alu instid0(VALU_DEP_3) | instskip(SKIP_1) | instid1(VALU_DEP_4)
	v_add_f64_e32 v[4:5], v[140:141], v[4:5]
	v_mul_f64_e32 v[140:141], s[16:17], v[197:198]
	v_add_f64_e32 v[112:113], v[124:125], v[112:113]
	s_delay_alu instid0(VALU_DEP_2) | instskip(SKIP_3) | instid1(VALU_DEP_2)
	v_fma_f64 v[142:143], v[195:196], s[14:15], -v[140:141]
	v_fma_f64 v[124:125], v[195:196], s[14:15], v[140:141]
	v_dual_mov_b32 v141, v13 :: v_dual_mov_b32 v140, v12
	v_mul_f64_e32 v[12:13], s[56:57], v[235:236]
	v_add_f64_e32 v[136:137], v[136:137], v[140:141]
	v_mul_f64_e32 v[140:141], s[14:15], v[173:174]
	v_add_f64_e32 v[6:7], v[142:143], v[6:7]
	;; [unrolled: 2-line block ×3, first 2 shown]
	v_fma_f64 v[14:15], v[227:228], s[36:37], -v[12:13]
	v_fma_f64 v[12:13], v[227:228], s[36:37], v[12:13]
	v_add_f64_e32 v[140:141], v[140:141], v[16:17]
	scratch_load_b64 v[16:17], off, off offset:132 th:TH_LOAD_LU ; 8-byte Folded Reload
	v_fma_f64 v[152:153], v[205:206], s[2:3], v[142:143]
	v_fma_f64 v[124:125], v[205:206], s[2:3], -v[142:143]
	v_mul_f64_e32 v[142:143], s[18:19], v[179:180]
	v_add_f64_e32 v[122:123], v[140:141], v[122:123]
	v_mul_f64_e32 v[140:141], s[18:19], v[173:174]
	v_add_f64_e32 v[4:5], v[152:153], v[4:5]
	;; [unrolled: 2-line block ×3, first 2 shown]
	v_add_f64_e32 v[142:143], v[142:143], v[20:21]
	v_mul_f64_e32 v[20:21], s[24:25], v[235:236]
	s_delay_alu instid0(VALU_DEP_4)
	v_fma_f64 v[225:226], v[203:204], s[2:3], -v[152:153]
	v_fma_f64 v[124:125], v[203:204], s[2:3], v[152:153]
	v_mul_f64_e32 v[152:153], s[40:41], v[175:176]
	v_add_f64_e32 v[122:123], v[142:143], v[122:123]
	v_mul_f64_e32 v[142:143], s[22:23], v[179:180]
	v_add_f64_e32 v[6:7], v[225:226], v[6:7]
	;; [unrolled: 2-line block ×3, first 2 shown]
	s_delay_alu instid0(VALU_DEP_2) | instskip(SKIP_2) | instid1(VALU_DEP_3)
	v_fma_f64 v[238:239], v[215:216], s[22:23], v[225:226]
	v_fma_f64 v[124:125], v[215:216], s[22:23], -v[225:226]
	v_mul_f64_e32 v[225:226], s[16:17], v[191:192]
	v_add_f64_e32 v[4:5], v[238:239], v[4:5]
	v_mul_f64_e32 v[238:239], s[24:25], v[217:218]
	s_delay_alu instid0(VALU_DEP_4) | instskip(NEXT) | instid1(VALU_DEP_2)
	v_add_f64_e32 v[112:113], v[124:125], v[112:113]
	v_fma_f64 v[124:125], v[209:210], s[22:23], v[238:239]
	v_fma_f64 v[240:241], v[209:210], s[22:23], -v[238:239]
	v_mul_f64_e32 v[238:239], s[16:17], v[181:182]
	s_delay_alu instid0(VALU_DEP_3) | instskip(SKIP_1) | instid1(VALU_DEP_4)
	v_add_f64_e32 v[124:125], v[124:125], v[114:115]
	v_fma_f64 v[114:115], v[227:228], s[28:29], -v[242:243]
	v_add_f64_e32 v[240:241], v[240:241], v[6:7]
	v_fma_f64 v[6:7], v[227:228], s[28:29], v[242:243]
	v_mul_f64_e32 v[242:243], s[20:21], v[189:190]
	s_delay_alu instid0(VALU_DEP_4)
	v_add_f64_e32 v[114:115], v[114:115], v[112:113]
	v_add_f64_e32 v[112:113], v[126:127], v[124:125]
	v_fma_f64 v[124:125], v[177:178], s[28:29], -v[144:145]
	v_add_f64_e32 v[6:7], v[6:7], v[4:5]
	v_fma_f64 v[4:5], v[219:220], s[28:29], -v[244:245]
	v_mul_f64_e32 v[244:245], s[52:53], v[211:212]
	scratch_load_b64 v[126:127], off, off offset:100 th:TH_LOAD_LU ; 8-byte Folded Reload
	v_add_f64_e32 v[116:117], v[124:125], v[116:117]
	v_fma_f64 v[124:125], v[173:174], s[28:29], v[152:153]
	v_add_f64_e32 v[4:5], v[4:5], v[240:241]
	v_mul_f64_e32 v[240:241], s[20:21], v[199:200]
	s_delay_alu instid0(VALU_DEP_3) | instskip(SKIP_1) | instid1(VALU_DEP_1)
	v_add_f64_e32 v[118:119], v[124:125], v[118:119]
	v_fma_f64 v[124:125], v[185:186], s[14:15], -v[225:226]
	v_add_f64_e32 v[116:117], v[124:125], v[116:117]
	v_fma_f64 v[124:125], v[179:180], s[14:15], v[238:239]
	s_delay_alu instid0(VALU_DEP_1) | instskip(SKIP_1) | instid1(VALU_DEP_1)
	v_add_f64_e32 v[118:119], v[124:125], v[118:119]
	v_fma_f64 v[124:125], v[193:194], s[18:19], -v[240:241]
	v_add_f64_e32 v[116:117], v[124:125], v[116:117]
	v_fma_f64 v[124:125], v[187:188], s[18:19], v[242:243]
	s_delay_alu instid0(VALU_DEP_1) | instskip(SKIP_1) | instid1(VALU_DEP_1)
	;; [unrolled: 5-line block ×3, first 2 shown]
	v_add_f64_e32 v[118:119], v[124:125], v[118:119]
	v_fma_f64 v[124:125], v[205:206], s[22:23], -v[248:249]
	v_add_f64_e32 v[116:117], v[124:125], v[116:117]
	v_fma_f64 v[124:125], v[203:204], s[22:23], v[250:251]
	s_delay_alu instid0(VALU_DEP_1) | instskip(SKIP_1) | instid1(VALU_DEP_2)
	v_add_f64_e32 v[118:119], v[124:125], v[118:119]
	v_fma_f64 v[124:125], v[215:216], s[2:3], -v[252:253]
	v_add_f64_e32 v[10:11], v[10:11], v[118:119]
	s_delay_alu instid0(VALU_DEP_2) | instskip(SKIP_3) | instid1(VALU_DEP_1)
	v_add_f64_e32 v[116:117], v[124:125], v[116:117]
	scratch_load_b64 v[124:125], off, off offset:116 th:TH_LOAD_LU ; 8-byte Folded Reload
	v_add_f64_e32 v[118:119], v[14:15], v[116:117]
	v_mul_f64_e32 v[14:15], s[56:57], v[231:232]
	v_fma_f64 v[116:117], v[219:220], s[36:37], v[14:15]
	v_fma_f64 v[14:15], v[219:220], s[36:37], -v[14:15]
	s_delay_alu instid0(VALU_DEP_2) | instskip(SKIP_2) | instid1(VALU_DEP_1)
	v_add_f64_e32 v[116:117], v[116:117], v[10:11]
	v_mul_f64_e32 v[10:11], s[46:47], v[221:222]
	s_wait_loadcnt 0x0
	v_add_f64_e64 v[10:11], v[124:125], -v[10:11]
	v_mul_f64_e32 v[124:125], s[34:35], v[211:212]
	s_delay_alu instid0(VALU_DEP_1) | instskip(SKIP_1) | instid1(VALU_DEP_1)
	v_add_f64_e64 v[124:125], v[126:127], -v[124:125]
	v_mul_f64_e32 v[126:127], s[38:39], v[199:200]
	v_add_f64_e64 v[126:127], v[128:129], -v[126:127]
	v_mul_f64_e32 v[128:129], s[44:45], v[191:192]
	s_delay_alu instid0(VALU_DEP_1) | instskip(SKIP_1) | instid1(VALU_DEP_1)
	v_add_f64_e64 v[128:129], v[132:133], -v[128:129]
	v_mul_f64_e32 v[132:133], s[16:17], v[183:184]
	v_add_f64_e64 v[132:133], v[18:19], -v[132:133]
	scratch_load_b64 v[18:19], off, off offset:92 th:TH_LOAD_LU ; 8-byte Folded Reload
	v_add_f64_e32 v[120:121], v[132:133], v[120:121]
	v_mul_f64_e32 v[132:133], s[22:23], v[187:188]
	s_delay_alu instid0(VALU_DEP_2) | instskip(SKIP_1) | instid1(VALU_DEP_3)
	v_add_f64_e32 v[120:121], v[128:129], v[120:121]
	v_mul_f64_e32 v[128:129], s[40:41], v[229:230]
	v_add_f64_e32 v[132:133], v[132:133], v[22:23]
	v_fma_f64 v[22:23], v[227:228], s[22:23], -v[20:21]
	v_fma_f64 v[20:21], v[227:228], s[22:23], v[20:21]
	v_add_f64_e32 v[120:121], v[126:127], v[120:121]
	v_add_f64_e64 v[128:129], v[16:17], -v[128:129]
	scratch_load_b64 v[16:17], off, off offset:108 th:TH_LOAD_LU ; 8-byte Folded Reload
	v_mul_f64_e32 v[126:127], s[28:29], v[209:210]
	v_add_f64_e32 v[122:123], v[132:133], v[122:123]
	v_add_f64_e32 v[120:121], v[124:125], v[120:121]
	v_mul_f64_e32 v[124:125], s[42:43], v[235:236]
	s_delay_alu instid0(VALU_DEP_3) | instskip(SKIP_1) | instid1(VALU_DEP_4)
	v_add_f64_e32 v[122:123], v[136:137], v[122:123]
	v_mul_f64_e32 v[136:137], s[2:3], v[195:196]
	v_add_f64_e32 v[10:11], v[10:11], v[120:121]
	s_delay_alu instid0(VALU_DEP_1) | instskip(SKIP_4) | instid1(VALU_DEP_2)
	v_add_f64_e32 v[10:11], v[128:129], v[10:11]
	v_mul_f64_e32 v[128:129], s[38:39], v[191:192]
	s_wait_loadcnt 0x1
	v_add_f64_e32 v[134:135], v[134:135], v[18:19]
	v_mul_f64_e32 v[18:19], s[34:35], v[217:218]
	v_add_f64_e32 v[120:121], v[134:135], v[122:123]
	v_mul_f64_e32 v[122:123], s[30:31], v[219:220]
	v_mul_f64_e32 v[134:135], s[30:31], v[203:204]
	s_wait_loadcnt 0x0
	v_add_f64_e32 v[126:127], v[126:127], v[16:17]
	scratch_load_b64 v[16:17], off, off offset:180 th:TH_LOAD_LU ; 8-byte Folded Reload
	v_add_f64_e32 v[120:121], v[126:127], v[120:121]
	v_mul_f64_e32 v[126:127], s[56:57], v[199:200]
	s_wait_loadcnt 0x0
	v_add_f64_e64 v[124:125], v[16:17], -v[124:125]
	scratch_load_b64 v[16:17], off, off offset:124 th:TH_LOAD_LU ; 8-byte Folded Reload
	s_wait_loadcnt 0x0
	v_add_f64_e32 v[132:133], v[122:123], v[16:17]
	scratch_load_b64 v[16:17], off, off offset:388 th:TH_LOAD_LU ; 8-byte Folded Reload
	v_add_f64_e32 v[122:123], v[124:125], v[10:11]
	v_mul_f64_e32 v[10:11], s[42:43], v[221:222]
	v_mul_f64_e32 v[124:125], s[10:11], v[211:212]
	v_add_f64_e32 v[120:121], v[132:133], v[120:121]
	v_mul_f64_e32 v[132:133], s[20:21], v[183:184]
	s_wait_loadcnt 0x0
	s_delay_alu instid0(VALU_DEP_4)
	v_add_f64_e64 v[10:11], v[16:17], -v[10:11]
	scratch_load_b64 v[16:17], off, off offset:340 th:TH_LOAD_LU ; 8-byte Folded Reload
	s_wait_loadcnt 0x0
	v_add_f64_e64 v[124:125], v[16:17], -v[124:125]
	scratch_load_b64 v[16:17], off, off offset:260 th:TH_LOAD_LU ; 8-byte Folded Reload
	s_wait_loadcnt 0x0
	;; [unrolled: 3-line block ×4, first 2 shown]
	v_add_f64_e64 v[132:133], v[16:17], -v[132:133]
	scratch_load_b64 v[16:17], off, off offset:292 th:TH_LOAD_LU ; 8-byte Folded Reload
	v_add_f64_e32 v[132:133], v[132:133], v[168:169]
	v_mul_f64_e32 v[168:169], s[36:37], v[187:188]
	s_delay_alu instid0(VALU_DEP_2) | instskip(NEXT) | instid1(VALU_DEP_1)
	v_add_f64_e32 v[128:129], v[128:129], v[132:133]
	v_add_f64_e32 v[126:127], v[126:127], v[128:129]
	s_delay_alu instid0(VALU_DEP_1) | instskip(NEXT) | instid1(VALU_DEP_1)
	v_add_f64_e32 v[124:125], v[124:125], v[126:127]
	v_add_f64_e32 v[10:11], v[10:11], v[124:125]
	s_wait_loadcnt 0x0
	v_add_f64_e32 v[134:135], v[134:135], v[16:17]
	scratch_load_b64 v[16:17], off, off offset:228 th:TH_LOAD_LU ; 8-byte Folded Reload
	s_wait_loadcnt 0x0
	v_add_f64_e32 v[136:137], v[136:137], v[16:17]
	scratch_load_b64 v[16:17], off, off offset:140 th:TH_LOAD_LU ; 8-byte Folded Reload
	;; [unrolled: 3-line block ×3, first 2 shown]
	v_add_f64_e32 v[140:141], v[140:141], v[170:171]
	v_mul_f64_e32 v[170:171], s[26:27], v[179:180]
	s_wait_loadcnt 0x0
	v_add_f64_e32 v[142:143], v[142:143], v[16:17]
	scratch_load_b64 v[16:17], off, off offset:156 th:TH_LOAD_LU ; 8-byte Folded Reload
	v_add_f64_e32 v[132:133], v[142:143], v[140:141]
	v_mul_f64_e32 v[140:141], s[48:49], v[229:230]
	v_mul_f64_e32 v[142:143], s[52:53], v[183:184]
	s_wait_loadcnt 0x0
	v_add_f64_e32 v[168:169], v[168:169], v[16:17]
	scratch_load_b64 v[16:17], off, off offset:268 th:TH_LOAD_LU ; 8-byte Folded Reload
	v_add_f64_e32 v[128:129], v[168:169], v[132:133]
	v_mul_f64_e32 v[132:133], s[14:15], v[209:210]
	v_mul_f64_e32 v[168:169], s[30:31], v[173:174]
	s_delay_alu instid0(VALU_DEP_3) | instskip(SKIP_2) | instid1(VALU_DEP_3)
	v_add_f64_e32 v[126:127], v[136:137], v[128:129]
	v_mul_f64_e32 v[128:129], s[34:35], v[235:236]
	v_mul_f64_e32 v[136:137], s[10:11], v[199:200]
	v_add_f64_e32 v[124:125], v[134:135], v[126:127]
	v_mul_f64_e32 v[126:127], s[26:27], v[219:220]
	s_wait_loadcnt 0x0
	v_add_f64_e64 v[140:141], v[16:17], -v[140:141]
	scratch_load_b64 v[16:17], off, off offset:204 th:TH_LOAD_LU ; 8-byte Folded Reload
	v_add_f64_e32 v[10:11], v[140:141], v[10:11]
	v_mul_f64_e32 v[140:141], s[34:35], v[191:192]
	s_wait_loadcnt 0x0
	v_add_f64_e32 v[132:133], v[132:133], v[16:17]
	scratch_load_b64 v[16:17], off, off offset:308 th:TH_LOAD_LU ; 8-byte Folded Reload
	v_add_f64_e32 v[124:125], v[132:133], v[124:125]
	v_mul_f64_e32 v[132:133], s[54:55], v[221:222]
	s_wait_loadcnt 0x0
	v_add_f64_e64 v[128:129], v[16:17], -v[128:129]
	scratch_load_b64 v[16:17], off, off offset:196 th:TH_LOAD_LU ; 8-byte Folded Reload
	s_wait_loadcnt 0x0
	v_add_f64_e32 v[134:135], v[126:127], v[16:17]
	scratch_load_b64 v[16:17], off, off offset:460 th:TH_LOAD_LU ; 8-byte Folded Reload
	v_add_f64_e32 v[126:127], v[128:129], v[10:11]
	v_mul_f64_e32 v[10:11], s[16:17], v[235:236]
	v_mul_f64_e32 v[128:129], s[46:47], v[229:230]
	v_add_f64_e32 v[124:125], v[134:135], v[124:125]
	v_mul_f64_e32 v[134:135], s[20:21], v[211:212]
	s_wait_loadcnt 0x0
	s_delay_alu instid0(VALU_DEP_4)
	v_add_f64_e64 v[10:11], v[16:17], -v[10:11]
	scratch_load_b64 v[16:17], off, off offset:444 th:TH_LOAD_LU ; 8-byte Folded Reload
	s_wait_loadcnt 0x0
	v_add_f64_e64 v[128:129], v[16:17], -v[128:129]
	scratch_load_b64 v[16:17], off, off offset:428 th:TH_LOAD_LU ; 8-byte Folded Reload
	s_wait_loadcnt 0x0
	;; [unrolled: 3-line block ×6, first 2 shown]
	v_add_f64_e64 v[142:143], v[16:17], -v[142:143]
	scratch_load_b64 v[16:17], off, off offset:172 th:TH_LOAD_LU ; 8-byte Folded Reload
	v_add_f64_e32 v[130:131], v[142:143], v[130:131]
	s_delay_alu instid0(VALU_DEP_1) | instskip(NEXT) | instid1(VALU_DEP_1)
	v_add_f64_e32 v[130:131], v[140:141], v[130:131]
	v_add_f64_e32 v[130:131], v[136:137], v[130:131]
	s_delay_alu instid0(VALU_DEP_1) | instskip(NEXT) | instid1(VALU_DEP_1)
	v_add_f64_e32 v[130:131], v[134:135], v[130:131]
	;; [unrolled: 3-line block ×3, first 2 shown]
	v_add_f64_e32 v[130:131], v[10:11], v[128:129]
	v_mul_f64_e32 v[10:11], s[58:59], v[235:236]
	s_wait_loadcnt 0x0
	v_add_f64_e32 v[168:169], v[168:169], v[16:17]
	scratch_load_b64 v[16:17], off, off offset:212 th:TH_LOAD_LU ; 8-byte Folded Reload
	v_add_f64_e32 v[142:143], v[168:169], v[166:167]
	v_mul_f64_e32 v[166:167], s[2:3], v[187:188]
	v_mul_f64_e32 v[168:169], s[22:23], v[173:174]
	s_wait_loadcnt 0x0
	v_add_f64_e32 v[170:171], v[170:171], v[16:17]
	scratch_load_b64 v[16:17], off, off offset:236 th:TH_LOAD_LU ; 8-byte Folded Reload
	v_add_f64_e32 v[140:141], v[170:171], v[142:143]
	v_mul_f64_e32 v[142:143], s[18:19], v[195:196]
	;; [unrolled: 6-line block ×6, first 2 shown]
	s_wait_loadcnt 0x0
	v_add_f64_e32 v[134:135], v[134:135], v[16:17]
	scratch_load_b64 v[16:17], off, off offset:476 th:TH_LOAD_LU ; 8-byte Folded Reload
	v_add_f64_e32 v[128:129], v[134:135], v[132:133]
	v_mul_f64_e32 v[132:133], s[20:21], v[229:230]
	v_mul_f64_e32 v[134:135], s[50:51], v[221:222]
	s_wait_loadcnt 0x0
	v_add_f64_e64 v[10:11], v[16:17], -v[10:11]
	scratch_load_b64 v[16:17], off, off offset:468 th:TH_LOAD_LU ; 8-byte Folded Reload
	s_wait_loadcnt 0x0
	v_add_f64_e64 v[132:133], v[16:17], -v[132:133]
	scratch_load_b64 v[16:17], off, off offset:452 th:TH_LOAD_LU ; 8-byte Folded Reload
	;; [unrolled: 3-line block ×7, first 2 shown]
	v_add_f64_e32 v[162:163], v[166:167], v[162:163]
	v_mul_f64_e32 v[166:167], s[30:31], v[187:188]
	s_delay_alu instid0(VALU_DEP_2) | instskip(NEXT) | instid1(VALU_DEP_1)
	v_add_f64_e32 v[142:143], v[142:143], v[162:163]
	v_add_f64_e32 v[140:141], v[140:141], v[142:143]
	s_delay_alu instid0(VALU_DEP_1) | instskip(NEXT) | instid1(VALU_DEP_1)
	v_add_f64_e32 v[136:137], v[136:137], v[140:141]
	v_add_f64_e32 v[134:135], v[134:135], v[136:137]
	s_delay_alu instid0(VALU_DEP_1) | instskip(NEXT) | instid1(VALU_DEP_1)
	v_add_f64_e32 v[132:133], v[132:133], v[134:135]
	v_add_f64_e32 v[134:135], v[10:11], v[132:133]
	v_mul_f64_e32 v[10:11], s[58:59], v[183:184]
	s_wait_loadcnt 0x0
	v_add_f64_e32 v[168:169], v[168:169], v[16:17]
	scratch_load_b64 v[16:17], off, off offset:324 th:TH_LOAD_LU ; 8-byte Folded Reload
	v_add_f64_e32 v[164:165], v[168:169], v[164:165]
	s_wait_loadcnt 0x0
	v_add_f64_e32 v[170:171], v[170:171], v[16:17]
	scratch_load_b64 v[16:17], off, off offset:348 th:TH_LOAD_LU ; 8-byte Folded Reload
	v_add_f64_e32 v[162:163], v[170:171], v[164:165]
	v_mul_f64_e32 v[164:165], s[28:29], v[195:196]
	s_wait_loadcnt 0x0
	v_add_f64_e32 v[166:167], v[166:167], v[16:17]
	scratch_load_b64 v[16:17], off, off offset:364 th:TH_LOAD_LU ; 8-byte Folded Reload
	v_add_f64_e32 v[142:143], v[166:167], v[162:163]
	v_mul_f64_e32 v[162:163], s[26:27], v[203:204]
	;; [unrolled: 5-line block ×5, first 2 shown]
	s_wait_loadcnt 0x0
	v_add_f64_e32 v[140:141], v[140:141], v[16:17]
	s_delay_alu instid0(VALU_DEP_1) | instskip(SKIP_3) | instid1(VALU_DEP_3)
	v_add_f64_e32 v[132:133], v[140:141], v[136:137]
	v_fma_f64 v[136:137], v[177:178], s[2:3], -v[10:11]
	v_mul_f64_e32 v[140:141], s[58:59], v[175:176]
	v_fma_f64 v[10:11], v[177:178], s[2:3], v[10:11]
	v_add_f64_e32 v[136:137], v[136:137], v[138:139]
	s_delay_alu instid0(VALU_DEP_3) | instskip(NEXT) | instid1(VALU_DEP_3)
	v_fma_f64 v[138:139], v[173:174], s[2:3], v[140:141]
	v_add_f64_e32 v[10:11], v[10:11], v[160:161]
	v_mul_f64_e32 v[160:161], s[42:43], v[229:230]
	s_delay_alu instid0(VALU_DEP_3) | instskip(SKIP_1) | instid1(VALU_DEP_1)
	v_add_f64_e32 v[138:139], v[138:139], v[146:147]
	v_fma_f64 v[146:147], v[185:186], s[28:29], -v[142:143]
	v_add_f64_e32 v[136:137], v[146:147], v[136:137]
	v_mul_f64_e32 v[146:147], s[40:41], v[181:182]
	s_delay_alu instid0(VALU_DEP_1) | instskip(NEXT) | instid1(VALU_DEP_1)
	v_fma_f64 v[162:163], v[179:180], s[28:29], v[146:147]
	v_add_f64_e32 v[138:139], v[162:163], v[138:139]
	v_mul_f64_e32 v[162:163], s[48:49], v[199:200]
	s_delay_alu instid0(VALU_DEP_1) | instskip(NEXT) | instid1(VALU_DEP_1)
	v_fma_f64 v[164:165], v[193:194], s[14:15], -v[162:163]
	v_add_f64_e32 v[136:137], v[164:165], v[136:137]
	v_mul_f64_e32 v[164:165], s[48:49], v[189:190]
	s_delay_alu instid0(VALU_DEP_1) | instskip(NEXT) | instid1(VALU_DEP_1)
	v_fma_f64 v[166:167], v[187:188], s[14:15], v[164:165]
	v_add_f64_e32 v[138:139], v[166:167], v[138:139]
	v_mul_f64_e32 v[166:167], s[46:47], v[211:212]
	s_delay_alu instid0(VALU_DEP_1) | instskip(NEXT) | instid1(VALU_DEP_1)
	;; [unrolled: 8-line block ×4, first 2 shown]
	v_fma_f64 v[16:17], v[215:216], s[26:27], -v[223:224]
	v_add_f64_e32 v[16:17], v[16:17], v[136:137]
	v_fma_f64 v[136:137], v[209:210], s[26:27], v[18:19]
	v_fma_f64 v[18:19], v[209:210], s[26:27], -v[18:19]
	s_delay_alu instid0(VALU_DEP_2) | instskip(NEXT) | instid1(VALU_DEP_4)
	v_add_f64_e32 v[136:137], v[136:137], v[138:139]
	v_add_f64_e32 v[138:139], v[22:23], v[16:17]
	v_mul_f64_e32 v[16:17], s[24:25], v[231:232]
	s_delay_alu instid0(VALU_DEP_1) | instskip(SKIP_1) | instid1(VALU_DEP_2)
	v_fma_f64 v[22:23], v[219:220], s[22:23], v[16:17]
	v_fma_f64 v[16:17], v[219:220], s[22:23], -v[16:17]
	v_add_f64_e32 v[136:137], v[22:23], v[136:137]
	v_fma_f64 v[22:23], v[173:174], s[2:3], -v[140:141]
	v_fma_f64 v[140:141], v[185:186], s[28:29], v[142:143]
	s_delay_alu instid0(VALU_DEP_2) | instskip(NEXT) | instid1(VALU_DEP_2)
	v_add_f64_e32 v[22:23], v[22:23], v[154:155]
	v_add_f64_e32 v[10:11], v[140:141], v[10:11]
	v_fma_f64 v[140:141], v[179:180], s[28:29], -v[146:147]
	v_mul_f64_e32 v[154:155], s[24:25], v[197:198]
	s_delay_alu instid0(VALU_DEP_2) | instskip(SKIP_2) | instid1(VALU_DEP_2)
	v_add_f64_e32 v[22:23], v[140:141], v[22:23]
	v_fma_f64 v[140:141], v[193:194], s[14:15], v[162:163]
	v_mul_f64_e32 v[162:163], s[42:43], v[217:218]
	v_add_f64_e32 v[10:11], v[140:141], v[10:11]
	v_fma_f64 v[140:141], v[187:188], s[14:15], -v[164:165]
	v_mul_f64_e32 v[164:165], s[20:21], v[235:236]
	s_delay_alu instid0(VALU_DEP_2) | instskip(SKIP_2) | instid1(VALU_DEP_2)
	v_add_f64_e32 v[22:23], v[140:141], v[22:23]
	v_fma_f64 v[140:141], v[201:202], s[36:37], v[166:167]
	v_mul_f64_e32 v[166:167], s[20:21], v[231:232]
	v_add_f64_e32 v[10:11], v[140:141], v[10:11]
	v_fma_f64 v[140:141], v[195:196], s[36:37], -v[168:169]
	s_delay_alu instid0(VALU_DEP_1) | instskip(SKIP_1) | instid1(VALU_DEP_1)
	v_add_f64_e32 v[22:23], v[140:141], v[22:23]
	v_fma_f64 v[140:141], v[205:206], s[18:19], v[170:171]
	v_add_f64_e32 v[10:11], v[140:141], v[10:11]
	v_fma_f64 v[140:141], v[203:204], s[18:19], -v[158:159]
	v_mul_f64_e32 v[158:159], s[16:17], v[207:208]
	s_delay_alu instid0(VALU_DEP_2) | instskip(SKIP_1) | instid1(VALU_DEP_2)
	v_add_f64_e32 v[22:23], v[140:141], v[22:23]
	v_fma_f64 v[140:141], v[215:216], s[26:27], v[223:224]
	v_add_f64_e32 v[18:19], v[18:19], v[22:23]
	s_delay_alu instid0(VALU_DEP_2) | instskip(NEXT) | instid1(VALU_DEP_2)
	v_add_f64_e32 v[10:11], v[140:141], v[10:11]
	v_add_f64_e32 v[140:141], v[16:17], v[18:19]
	s_delay_alu instid0(VALU_DEP_2) | instskip(SKIP_4) | instid1(VALU_DEP_4)
	v_add_f64_e32 v[142:143], v[20:21], v[10:11]
	v_fma_f64 v[10:11], v[177:178], s[28:29], v[144:145]
	v_fma_f64 v[16:17], v[173:174], s[28:29], -v[152:153]
	v_fma_f64 v[18:19], v[185:186], s[14:15], v[225:226]
	v_mul_f64_e32 v[152:153], s[24:25], v[211:212]
	v_add_f64_e32 v[10:11], v[10:11], v[213:214]
	s_delay_alu instid0(VALU_DEP_4) | instskip(SKIP_1) | instid1(VALU_DEP_3)
	v_add_f64_e32 v[16:17], v[16:17], v[156:157]
	v_mul_f64_e32 v[156:157], s[16:17], v[221:222]
	v_add_f64_e32 v[10:11], v[18:19], v[10:11]
	v_fma_f64 v[18:19], v[179:180], s[14:15], -v[238:239]
	s_delay_alu instid0(VALU_DEP_1) | instskip(SKIP_1) | instid1(VALU_DEP_1)
	v_add_f64_e32 v[16:17], v[18:19], v[16:17]
	v_fma_f64 v[18:19], v[193:194], s[18:19], v[240:241]
	v_add_f64_e32 v[10:11], v[18:19], v[10:11]
	v_fma_f64 v[18:19], v[187:188], s[18:19], -v[242:243]
	s_delay_alu instid0(VALU_DEP_1) | instskip(SKIP_1) | instid1(VALU_DEP_1)
	v_add_f64_e32 v[16:17], v[18:19], v[16:17]
	v_fma_f64 v[18:19], v[201:202], s[30:31], v[244:245]
	;; [unrolled: 5-line block ×3, first 2 shown]
	v_add_f64_e32 v[10:11], v[18:19], v[10:11]
	v_fma_f64 v[18:19], v[203:204], s[22:23], -v[250:251]
	s_delay_alu instid0(VALU_DEP_1) | instskip(SKIP_1) | instid1(VALU_DEP_2)
	v_add_f64_e32 v[16:17], v[18:19], v[16:17]
	v_fma_f64 v[18:19], v[215:216], s[2:3], v[252:253]
	v_add_f64_e32 v[8:9], v[8:9], v[16:17]
	s_delay_alu instid0(VALU_DEP_2) | instskip(SKIP_1) | instid1(VALU_DEP_3)
	v_add_f64_e32 v[10:11], v[18:19], v[10:11]
	v_mul_f64_e32 v[16:17], s[10:11], v[191:192]
	v_add_f64_e32 v[144:145], v[14:15], v[8:9]
	v_mul_f64_e32 v[8:9], s[50:51], v[183:184]
	s_delay_alu instid0(VALU_DEP_4) | instskip(SKIP_2) | instid1(VALU_DEP_4)
	v_add_f64_e32 v[146:147], v[12:13], v[10:11]
	v_mul_f64_e32 v[12:13], s[50:51], v[175:176]
	v_fma_f64 v[18:19], v[185:186], s[2:3], -v[16:17]
	v_fma_f64 v[10:11], v[177:178], s[26:27], -v[8:9]
	v_fma_f64 v[8:9], v[177:178], s[26:27], v[8:9]
	s_delay_alu instid0(VALU_DEP_4) | instskip(NEXT) | instid1(VALU_DEP_3)
	v_fma_f64 v[14:15], v[173:174], s[26:27], v[12:13]
	v_add_f64_e32 v[10:11], v[10:11], v[148:149]
	s_delay_alu instid0(VALU_DEP_2) | instskip(NEXT) | instid1(VALU_DEP_2)
	v_add_f64_e32 v[14:15], v[14:15], v[150:151]
	v_add_f64_e32 v[10:11], v[18:19], v[10:11]
	v_mul_f64_e32 v[18:19], s[10:11], v[181:182]
	s_delay_alu instid0(VALU_DEP_1) | instskip(NEXT) | instid1(VALU_DEP_1)
	v_fma_f64 v[20:21], v[179:180], s[2:3], v[18:19]
	v_add_f64_e32 v[14:15], v[20:21], v[14:15]
	v_mul_f64_e32 v[20:21], s[40:41], v[199:200]
	s_delay_alu instid0(VALU_DEP_1) | instskip(NEXT) | instid1(VALU_DEP_1)
	v_fma_f64 v[22:23], v[193:194], s[28:29], -v[20:21]
	v_add_f64_e32 v[10:11], v[22:23], v[10:11]
	v_mul_f64_e32 v[22:23], s[40:41], v[189:190]
	s_delay_alu instid0(VALU_DEP_1) | instskip(NEXT) | instid1(VALU_DEP_1)
	v_fma_f64 v[148:149], v[187:188], s[28:29], v[22:23]
	v_add_f64_e32 v[14:15], v[148:149], v[14:15]
	v_fma_f64 v[148:149], v[201:202], s[22:23], -v[152:153]
	s_delay_alu instid0(VALU_DEP_1) | instskip(SKIP_1) | instid1(VALU_DEP_1)
	v_add_f64_e32 v[10:11], v[148:149], v[10:11]
	v_fma_f64 v[148:149], v[195:196], s[22:23], v[154:155]
	v_add_f64_e32 v[14:15], v[148:149], v[14:15]
	v_fma_f64 v[148:149], v[205:206], s[14:15], -v[156:157]
	s_delay_alu instid0(VALU_DEP_1) | instskip(SKIP_1) | instid1(VALU_DEP_1)
	v_add_f64_e32 v[10:11], v[148:149], v[10:11]
	;; [unrolled: 5-line block ×4, first 2 shown]
	v_fma_f64 v[10:11], v[219:220], s[18:19], v[166:167]
	v_add_f64_e32 v[148:149], v[10:11], v[14:15]
	v_fma_f64 v[10:11], v[173:174], s[26:27], -v[12:13]
	v_fma_f64 v[12:13], v[185:186], s[2:3], v[16:17]
	scratch_load_b64 v[16:17], off, off offset:84 th:TH_LOAD_LU ; 8-byte Folded Reload
	v_fma_f64 v[14:15], v[179:180], s[2:3], -v[18:19]
	v_fma_f64 v[18:19], v[187:188], s[28:29], -v[22:23]
	s_wait_loadcnt 0x0
	v_add_f64_e32 v[8:9], v[8:9], v[16:17]
	scratch_load_b64 v[16:17], off, off offset:484 th:TH_LOAD_LU ; 8-byte Folded Reload
	v_add_f64_e32 v[8:9], v[12:13], v[8:9]
	v_fma_f64 v[12:13], v[201:202], s[22:23], v[152:153]
	s_wait_loadcnt 0x0
	v_add_f64_e32 v[10:11], v[10:11], v[16:17]
	v_fma_f64 v[16:17], v[193:194], s[28:29], v[20:21]
	s_delay_alu instid0(VALU_DEP_2) | instskip(NEXT) | instid1(VALU_DEP_2)
	v_add_f64_e32 v[10:11], v[14:15], v[10:11]
	v_add_f64_e32 v[8:9], v[16:17], v[8:9]
	v_fma_f64 v[16:17], v[205:206], s[14:15], v[156:157]
	v_fma_f64 v[14:15], v[195:196], s[22:23], -v[154:155]
	s_delay_alu instid0(VALU_DEP_4) | instskip(NEXT) | instid1(VALU_DEP_4)
	v_add_f64_e32 v[10:11], v[18:19], v[10:11]
	v_add_f64_e32 v[8:9], v[12:13], v[8:9]
	v_fma_f64 v[12:13], v[215:216], s[30:31], v[160:161]
	v_fma_f64 v[18:19], v[203:204], s[14:15], -v[158:159]
	s_delay_alu instid0(VALU_DEP_4) | instskip(NEXT) | instid1(VALU_DEP_4)
	;; [unrolled: 5-line block ×3, first 2 shown]
	v_add_f64_e32 v[10:11], v[18:19], v[10:11]
	v_add_f64_e32 v[8:9], v[12:13], v[8:9]
	v_fma_f64 v[18:19], v[219:220], s[18:19], -v[166:167]
	s_delay_alu instid0(VALU_DEP_3) | instskip(NEXT) | instid1(VALU_DEP_3)
	v_add_f64_e32 v[10:11], v[14:15], v[10:11]
	v_add_f64_e32 v[154:155], v[16:17], v[8:9]
	s_clause 0x1
	scratch_load_b32 v8, off, off
	scratch_load_b32 v9, off, off offset:8 th:TH_LOAD_LU
	v_add_f64_e32 v[152:153], v[18:19], v[10:11]
	s_wait_loadcnt 0x1
	v_mul_lo_u16 v8, v8, 17
	s_delay_alu instid0(VALU_DEP_1) | instskip(SKIP_1) | instid1(VALU_DEP_1)
	v_and_b32_e32 v8, 0xffff, v8
	s_wait_loadcnt 0x0
	v_lshl_add_u32 v8, v8, 4, v9
	ds_store_b128 v8, v[116:119] offset:32
	ds_store_b128 v8, v[120:123] offset:48
	;; [unrolled: 1-line block ×15, first 2 shown]
	ds_store_b128 v8, v[0:3]
	ds_store_b128 v8, v[152:155] offset:256
.LBB0_17:
	s_wait_alu 0xfffe
	s_or_b32 exec_lo, exec_lo, s1
	global_wb scope:SCOPE_SE
	s_wait_storecnt_dscnt 0x0
	s_barrier_signal -1
	s_barrier_wait -1
	global_inv scope:SCOPE_SE
	ds_load_b128 v[2:5], v233 offset:1360
	ds_load_b128 v[112:115], v233 offset:4080
	s_mov_b32 s16, 0xf8bb580b
	s_mov_b32 s26, 0x8eee2c13
	;; [unrolled: 1-line block ×18, first 2 shown]
	s_wait_dscnt 0x1
	v_mul_f64_e32 v[0:1], v[30:31], v[4:5]
	s_mov_b32 s19, 0xbfe4f49e
	s_mov_b32 s25, 0xbfeeb42a
	;; [unrolled: 1-line block ×5, first 2 shown]
	s_wait_alu 0xfffe
	s_mov_b32 s38, s26
	s_mov_b32 s34, s20
	;; [unrolled: 1-line block ×7, first 2 shown]
	s_delay_alu instid0(VALU_DEP_1) | instskip(SKIP_1) | instid1(VALU_DEP_1)
	v_fma_f64 v[0:1], v[28:29], v[2:3], v[0:1]
	v_mul_f64_e32 v[2:3], v[30:31], v[2:3]
	v_fma_f64 v[2:3], v[28:29], v[4:5], -v[2:3]
	ds_load_b128 v[28:31], v233 offset:2720
	s_wait_dscnt 0x0
	v_mul_f64_e32 v[4:5], v[34:35], v[28:29]
	s_delay_alu instid0(VALU_DEP_1) | instskip(SKIP_1) | instid1(VALU_DEP_1)
	v_fma_f64 v[6:7], v[32:33], v[30:31], -v[4:5]
	v_mul_f64_e32 v[4:5], v[34:35], v[30:31]
	v_fma_f64 v[28:29], v[32:33], v[28:29], v[4:5]
	ds_load_b128 v[30:33], v233 offset:13600
	s_wait_dscnt 0x0
	v_mul_f64_e32 v[4:5], v[26:27], v[30:31]
	v_mul_f64_e32 v[8:9], v[26:27], v[32:33]
	s_delay_alu instid0(VALU_DEP_2) | instskip(NEXT) | instid1(VALU_DEP_2)
	v_fma_f64 v[4:5], v[24:25], v[32:33], -v[4:5]
	v_fma_f64 v[24:25], v[24:25], v[30:31], v[8:9]
	v_mul_f64_e32 v[8:9], v[42:43], v[112:113]
	s_delay_alu instid0(VALU_DEP_2) | instskip(NEXT) | instid1(VALU_DEP_2)
	v_add_f64_e32 v[18:19], v[0:1], v[24:25]
	v_fma_f64 v[32:33], v[40:41], v[114:115], -v[8:9]
	v_mul_f64_e32 v[8:9], v[42:43], v[114:115]
	v_add_f64_e64 v[118:119], v[0:1], -v[24:25]
	s_delay_alu instid0(VALU_DEP_2) | instskip(SKIP_3) | instid1(VALU_DEP_1)
	v_fma_f64 v[40:41], v[40:41], v[112:113], v[8:9]
	ds_load_b128 v[112:115], v233 offset:12240
	s_wait_dscnt 0x0
	v_mul_f64_e32 v[8:9], v[38:39], v[112:113]
	v_fma_f64 v[26:27], v[36:37], v[114:115], -v[8:9]
	v_mul_f64_e32 v[8:9], v[38:39], v[114:115]
	s_delay_alu instid0(VALU_DEP_1)
	v_fma_f64 v[30:31], v[36:37], v[112:113], v[8:9]
	ds_load_b128 v[36:39], v233 offset:10880
	s_wait_dscnt 0x0
	v_mul_f64_e32 v[8:9], v[46:47], v[36:37]
	v_add_f64_e32 v[144:145], v[28:29], v[30:31]
	v_add_f64_e64 v[148:149], v[28:29], -v[30:31]
	s_delay_alu instid0(VALU_DEP_3) | instskip(SKIP_1) | instid1(VALU_DEP_2)
	v_fma_f64 v[34:35], v[44:45], v[38:39], -v[8:9]
	v_mul_f64_e32 v[8:9], v[46:47], v[38:39]
	v_add_f64_e32 v[156:157], v[32:33], v[34:35]
	s_delay_alu instid0(VALU_DEP_2)
	v_fma_f64 v[36:37], v[44:45], v[36:37], v[8:9]
	ds_load_b128 v[44:47], v233 offset:5440
	s_wait_dscnt 0x0
	v_mul_f64_e32 v[8:9], v[50:51], v[46:47]
	v_mul_f64_e32 v[160:161], s[14:15], v[156:157]
	v_add_f64_e32 v[152:153], v[40:41], v[36:37]
	v_add_f64_e64 v[158:159], v[40:41], -v[36:37]
	v_mul_f64_e32 v[193:194], s[24:25], v[156:157]
	v_mul_f64_e32 v[205:206], s[2:3], v[156:157]
	;; [unrolled: 1-line block ×3, first 2 shown]
	v_fma_f64 v[42:43], v[48:49], v[44:45], v[8:9]
	v_mul_f64_e32 v[8:9], v[50:51], v[44:45]
	s_delay_alu instid0(VALU_DEP_1) | instskip(SKIP_3) | instid1(VALU_DEP_1)
	v_fma_f64 v[46:47], v[48:49], v[46:47], -v[8:9]
	ds_load_b128 v[48:51], v233 offset:9520
	s_wait_dscnt 0x0
	v_mul_f64_e32 v[8:9], v[54:55], v[50:51]
	v_fma_f64 v[38:39], v[52:53], v[48:49], v[8:9]
	v_mul_f64_e32 v[8:9], v[54:55], v[48:49]
	s_delay_alu instid0(VALU_DEP_2) | instskip(NEXT) | instid1(VALU_DEP_2)
	v_add_f64_e32 v[164:165], v[42:43], v[38:39]
	v_fma_f64 v[44:45], v[52:53], v[50:51], -v[8:9]
	ds_load_b128 v[50:53], v233 offset:6800
	v_add_f64_e64 v[170:171], v[42:43], -v[38:39]
	s_wait_dscnt 0x0
	v_mul_f64_e32 v[8:9], v[58:59], v[52:53]
	v_add_f64_e64 v[162:163], v[46:47], -v[44:45]
	v_add_f64_e32 v[168:169], v[46:47], v[44:45]
	s_delay_alu instid0(VALU_DEP_3) | instskip(SKIP_1) | instid1(VALU_DEP_4)
	v_fma_f64 v[48:49], v[56:57], v[50:51], v[8:9]
	v_mul_f64_e32 v[8:9], v[58:59], v[50:51]
	v_mul_f64_e32 v[166:167], s[20:21], v[162:163]
	s_delay_alu instid0(VALU_DEP_4)
	v_mul_f64_e32 v[173:174], s[18:19], v[168:169]
	s_wait_alu 0xfffe
	v_mul_f64_e32 v[195:196], s[36:37], v[162:163]
	v_mul_f64_e32 v[197:198], s[14:15], v[168:169]
	;; [unrolled: 1-line block ×6, first 2 shown]
	v_fma_f64 v[50:51], v[56:57], v[52:53], -v[8:9]
	ds_load_b128 v[54:57], v233 offset:8160
	s_wait_dscnt 0x0
	v_mul_f64_e32 v[8:9], v[62:63], v[56:57]
	s_delay_alu instid0(VALU_DEP_1) | instskip(SKIP_1) | instid1(VALU_DEP_2)
	v_fma_f64 v[52:53], v[60:61], v[54:55], v[8:9]
	v_mul_f64_e32 v[8:9], v[62:63], v[54:55]
	v_add_f64_e32 v[177:178], v[48:49], v[52:53]
	s_delay_alu instid0(VALU_DEP_2) | instskip(SKIP_2) | instid1(VALU_DEP_3)
	v_fma_f64 v[54:55], v[60:61], v[56:57], -v[8:9]
	v_add_f64_e64 v[8:9], v[2:3], -v[4:5]
	v_add_f64_e64 v[183:184], v[48:49], -v[52:53]
	;; [unrolled: 1-line block ×3, first 2 shown]
	s_delay_alu instid0(VALU_DEP_3)
	v_mul_f64_e32 v[10:11], s[16:17], v[8:9]
	v_mul_f64_e32 v[12:13], s[26:27], v[8:9]
	;; [unrolled: 1-line block ×5, first 2 shown]
	v_add_f64_e32 v[181:182], v[50:51], v[54:55]
	v_mul_f64_e32 v[179:180], s[28:29], v[175:176]
	v_fma_f64 v[20:21], v[18:19], s[10:11], v[10:11]
	v_fma_f64 v[10:11], v[18:19], s[10:11], -v[10:11]
	v_fma_f64 v[22:23], v[18:19], s[2:3], v[12:13]
	v_fma_f64 v[12:13], v[18:19], s[2:3], -v[12:13]
	;; [unrolled: 2-line block ×5, first 2 shown]
	v_add_f64_e32 v[18:19], v[2:3], v[4:5]
	v_mul_f64_e32 v[185:186], s[24:25], v[181:182]
	v_mul_f64_e32 v[199:200], s[40:41], v[175:176]
	;; [unrolled: 1-line block ×11, first 2 shown]
	v_fma_f64 v[120:121], v[118:119], s[16:17], v[56:57]
	v_fma_f64 v[124:125], v[118:119], s[38:39], v[58:59]
	;; [unrolled: 1-line block ×7, first 2 shown]
	ds_load_b128 v[56:59], v233
	v_fma_f64 v[128:129], v[118:119], s[36:37], v[114:115]
	v_fma_f64 v[114:115], v[118:119], s[22:23], v[114:115]
	;; [unrolled: 1-line block ×3, first 2 shown]
	global_wb scope:SCOPE_SE
	s_wait_dscnt 0x0
	s_barrier_signal -1
	s_barrier_wait -1
	global_inv scope:SCOPE_SE
	v_add_f64_e32 v[140:141], v[56:57], v[0:1]
	v_add_f64_e32 v[0:1], v[56:57], v[10:11]
	;; [unrolled: 1-line block ×17, first 2 shown]
	v_add_f64_e64 v[116:117], v[6:7], -v[26:27]
	v_add_f64_e32 v[118:119], v[58:59], v[128:129]
	v_add_f64_e32 v[120:121], v[56:57], v[62:63]
	;; [unrolled: 1-line block ×4, first 2 shown]
	v_add_f64_e64 v[126:127], v[32:33], -v[34:35]
	v_add_f64_e32 v[18:19], v[58:59], v[18:19]
	v_add_f64_e32 v[134:135], v[58:59], v[114:115]
	;; [unrolled: 1-line block ×3, first 2 shown]
	v_mul_f64_e32 v[150:151], s[2:3], v[122:123]
	v_mul_f64_e32 v[189:190], s[18:19], v[122:123]
	;; [unrolled: 1-line block ×11, first 2 shown]
	v_add_f64_e32 v[6:7], v[6:7], v[32:33]
	v_fma_f64 v[56:57], v[144:145], s[2:3], -v[146:147]
	v_fma_f64 v[114:115], v[148:149], s[22:23], v[217:218]
	s_delay_alu instid0(VALU_DEP_4) | instskip(NEXT) | instid1(VALU_DEP_4)
	v_fma_f64 v[112:113], v[152:153], s[2:3], v[203:204]
	v_add_f64_e32 v[6:7], v[6:7], v[46:47]
	s_delay_alu instid0(VALU_DEP_4)
	v_add_f64_e32 v[0:1], v[56:57], v[0:1]
	v_fma_f64 v[56:57], v[148:149], s[26:27], v[150:151]
	v_add_f64_e32 v[114:115], v[114:115], v[124:125]
	v_mul_f64_e32 v[124:125], s[16:17], v[126:127]
	v_mul_f64_e32 v[126:127], s[20:21], v[126:127]
	v_add_f64_e32 v[6:7], v[6:7], v[50:51]
	v_add_f64_e32 v[2:3], v[56:57], v[2:3]
	v_fma_f64 v[56:57], v[152:153], s[14:15], -v[154:155]
	s_delay_alu instid0(VALU_DEP_3) | instskip(NEXT) | instid1(VALU_DEP_2)
	v_add_f64_e32 v[6:7], v[6:7], v[54:55]
	v_add_f64_e32 v[0:1], v[56:57], v[0:1]
	v_fma_f64 v[56:57], v[158:159], s[22:23], v[160:161]
	s_delay_alu instid0(VALU_DEP_3) | instskip(NEXT) | instid1(VALU_DEP_2)
	v_add_f64_e32 v[6:7], v[6:7], v[44:45]
	v_add_f64_e32 v[2:3], v[56:57], v[2:3]
	v_fma_f64 v[56:57], v[164:165], s[18:19], -v[166:167]
	s_delay_alu instid0(VALU_DEP_3) | instskip(NEXT) | instid1(VALU_DEP_2)
	v_add_f64_e32 v[6:7], v[6:7], v[34:35]
	v_add_f64_e32 v[0:1], v[56:57], v[0:1]
	v_fma_f64 v[56:57], v[170:171], s[20:21], v[173:174]
	s_delay_alu instid0(VALU_DEP_3) | instskip(NEXT) | instid1(VALU_DEP_2)
	v_add_f64_e32 v[6:7], v[6:7], v[26:27]
	v_add_f64_e32 v[2:3], v[56:57], v[2:3]
	v_fma_f64 v[56:57], v[177:178], s[24:25], -v[179:180]
	s_delay_alu instid0(VALU_DEP_3) | instskip(NEXT) | instid1(VALU_DEP_2)
	v_add_f64_e32 v[26:27], v[6:7], v[4:5]
	v_add_f64_e32 v[0:1], v[56:57], v[0:1]
	v_fma_f64 v[56:57], v[183:184], s[28:29], v[185:186]
	s_delay_alu instid0(VALU_DEP_1) | instskip(SKIP_1) | instid1(VALU_DEP_1)
	v_add_f64_e32 v[2:3], v[56:57], v[2:3]
	v_fma_f64 v[56:57], v[144:145], s[18:19], v[187:188]
	v_add_f64_e32 v[10:11], v[56:57], v[10:11]
	v_fma_f64 v[56:57], v[148:149], s[34:35], v[189:190]
	s_delay_alu instid0(VALU_DEP_1) | instskip(SKIP_1) | instid1(VALU_DEP_1)
	v_add_f64_e32 v[22:23], v[56:57], v[22:23]
	v_fma_f64 v[56:57], v[152:153], s[24:25], v[191:192]
	;; [unrolled: 5-line block ×4, first 2 shown]
	v_add_f64_e32 v[56:57], v[56:57], v[10:11]
	v_mul_f64_e32 v[10:11], s[10:11], v[181:182]
	s_delay_alu instid0(VALU_DEP_1) | instskip(SKIP_1) | instid1(VALU_DEP_2)
	v_fma_f64 v[58:59], v[183:184], s[16:17], v[10:11]
	v_fma_f64 v[10:11], v[183:184], s[40:41], v[10:11]
	v_add_f64_e32 v[58:59], v[58:59], v[22:23]
	v_mul_f64_e32 v[22:23], s[30:31], v[116:117]
	s_delay_alu instid0(VALU_DEP_1) | instskip(NEXT) | instid1(VALU_DEP_1)
	v_fma_f64 v[62:63], v[144:145], s[24:25], v[22:23]
	v_add_f64_e32 v[60:61], v[62:63], v[60:61]
	v_fma_f64 v[62:63], v[148:149], s[28:29], v[201:202]
	s_delay_alu instid0(VALU_DEP_2) | instskip(NEXT) | instid1(VALU_DEP_2)
	v_add_f64_e32 v[60:61], v[112:113], v[60:61]
	v_add_f64_e32 v[62:63], v[62:63], v[118:119]
	v_fma_f64 v[112:113], v[158:159], s[26:27], v[205:206]
	v_fma_f64 v[118:119], v[152:153], s[10:11], v[124:125]
	s_delay_alu instid0(VALU_DEP_2) | instskip(SKIP_1) | instid1(VALU_DEP_1)
	v_add_f64_e32 v[62:63], v[112:113], v[62:63]
	v_fma_f64 v[112:113], v[164:165], s[10:11], v[207:208]
	v_add_f64_e32 v[60:61], v[112:113], v[60:61]
	v_fma_f64 v[112:113], v[170:171], s[40:41], v[209:210]
	s_delay_alu instid0(VALU_DEP_1) | instskip(SKIP_1) | instid1(VALU_DEP_1)
	v_add_f64_e32 v[62:63], v[112:113], v[62:63]
	v_fma_f64 v[112:113], v[177:178], s[18:19], v[211:212]
	v_add_f64_e32 v[60:61], v[112:113], v[60:61]
	v_fma_f64 v[112:113], v[183:184], s[34:35], v[213:214]
	s_delay_alu instid0(VALU_DEP_1) | instskip(SKIP_1) | instid1(VALU_DEP_1)
	v_add_f64_e32 v[62:63], v[112:113], v[62:63]
	v_fma_f64 v[112:113], v[144:145], s[14:15], v[215:216]
	v_add_f64_e32 v[112:113], v[112:113], v[120:121]
	v_mul_f64_e32 v[120:121], s[40:41], v[116:117]
	s_delay_alu instid0(VALU_DEP_2) | instskip(SKIP_1) | instid1(VALU_DEP_3)
	v_add_f64_e32 v[112:113], v[118:119], v[112:113]
	v_fma_f64 v[118:119], v[158:159], s[40:41], v[219:220]
	v_fma_f64 v[116:117], v[144:145], s[10:11], v[120:121]
	v_fma_f64 v[120:121], v[144:145], s[10:11], -v[120:121]
	s_delay_alu instid0(VALU_DEP_3) | instskip(SKIP_1) | instid1(VALU_DEP_4)
	v_add_f64_e32 v[114:115], v[118:119], v[114:115]
	v_fma_f64 v[118:119], v[164:165], s[24:25], v[221:222]
	v_add_f64_e32 v[116:117], v[116:117], v[128:129]
	v_fma_f64 v[128:129], v[152:153], s[18:19], v[126:127]
	;; [unrolled: 2-line block ×4, first 2 shown]
	v_add_f64_e32 v[116:117], v[128:129], v[116:117]
	v_mul_f64_e32 v[128:129], s[18:19], v[156:157]
	v_add_f64_e32 v[18:19], v[120:121], v[18:19]
	v_fma_f64 v[120:121], v[152:153], s[18:19], -v[126:127]
	v_fma_f64 v[126:127], v[183:184], s[38:39], v[227:228]
	v_add_f64_e32 v[114:115], v[118:119], v[114:115]
	v_fma_f64 v[118:119], v[177:178], s[2:3], v[225:226]
	s_delay_alu instid0(VALU_DEP_4) | instskip(SKIP_1) | instid1(VALU_DEP_3)
	v_add_f64_e32 v[8:9], v[120:121], v[8:9]
	v_fma_f64 v[120:121], v[158:159], s[20:21], v[128:129]
	v_add_f64_e32 v[112:113], v[118:119], v[112:113]
	v_fma_f64 v[118:119], v[183:184], s[26:27], v[227:228]
	s_delay_alu instid0(VALU_DEP_3) | instskip(NEXT) | instid1(VALU_DEP_2)
	v_add_f64_e32 v[18:19], v[120:121], v[18:19]
	v_add_f64_e32 v[114:115], v[118:119], v[114:115]
	v_fma_f64 v[118:119], v[148:149], s[16:17], v[122:123]
	ds_store_b128 v234, v[56:59] offset:544
	ds_store_b128 v234, v[60:63] offset:816
	;; [unrolled: 1-line block ×3, first 2 shown]
	scratch_load_b32 v4, off, off offset:12 th:TH_LOAD_LU ; 4-byte Folded Reload
	v_add_f64_e32 v[118:119], v[118:119], v[130:131]
	v_fma_f64 v[130:131], v[158:159], s[34:35], v[128:129]
	s_delay_alu instid0(VALU_DEP_1) | instskip(SKIP_1) | instid1(VALU_DEP_1)
	v_add_f64_e32 v[118:119], v[130:131], v[118:119]
	v_mul_f64_e32 v[130:131], s[38:39], v[162:163]
	v_fma_f64 v[156:157], v[164:165], s[2:3], v[130:131]
	v_fma_f64 v[120:121], v[164:165], s[2:3], -v[130:131]
	s_delay_alu instid0(VALU_DEP_2) | instskip(SKIP_1) | instid1(VALU_DEP_3)
	v_add_f64_e32 v[116:117], v[156:157], v[116:117]
	v_mul_f64_e32 v[156:157], s[2:3], v[168:169]
	v_add_f64_e32 v[8:9], v[120:121], v[8:9]
	v_mul_f64_e32 v[168:169], s[14:15], v[181:182]
	s_delay_alu instid0(VALU_DEP_3) | instskip(SKIP_1) | instid1(VALU_DEP_3)
	v_fma_f64 v[162:163], v[170:171], s[26:27], v[156:157]
	v_fma_f64 v[120:121], v[170:171], s[38:39], v[156:157]
	;; [unrolled: 1-line block ×3, first 2 shown]
	s_delay_alu instid0(VALU_DEP_3) | instskip(SKIP_1) | instid1(VALU_DEP_4)
	v_add_f64_e32 v[118:119], v[162:163], v[118:119]
	v_mul_f64_e32 v[162:163], s[22:23], v[175:176]
	v_add_f64_e32 v[18:19], v[120:121], v[18:19]
	s_delay_alu instid0(VALU_DEP_2) | instskip(NEXT) | instid1(VALU_DEP_2)
	v_fma_f64 v[120:121], v[177:178], s[14:15], -v[162:163]
	v_add_f64_e32 v[122:123], v[122:123], v[18:19]
	v_fma_f64 v[18:19], v[152:153], s[10:11], -v[124:125]
	v_fma_f64 v[175:176], v[177:178], s[14:15], v[162:163]
	s_delay_alu instid0(VALU_DEP_4) | instskip(SKIP_1) | instid1(VALU_DEP_3)
	v_add_f64_e32 v[120:121], v[120:121], v[8:9]
	v_fma_f64 v[8:9], v[144:145], s[14:15], -v[215:216]
	v_add_f64_e32 v[116:117], v[175:176], v[116:117]
	v_fma_f64 v[175:176], v[183:184], s[36:37], v[168:169]
	s_delay_alu instid0(VALU_DEP_3) | instskip(SKIP_1) | instid1(VALU_DEP_3)
	v_add_f64_e32 v[8:9], v[8:9], v[16:17]
	v_fma_f64 v[16:17], v[148:149], s[36:37], v[217:218]
	v_add_f64_e32 v[118:119], v[175:176], v[118:119]
	s_wait_loadcnt 0x0
	v_add_nc_u32_e32 v60, 0x550, v4
	s_delay_alu instid0(VALU_DEP_4) | instskip(NEXT) | instid1(VALU_DEP_4)
	v_add_f64_e32 v[8:9], v[18:19], v[8:9]
	v_add_f64_e32 v[16:17], v[16:17], v[132:133]
	v_fma_f64 v[18:19], v[158:159], s[16:17], v[219:220]
	s_delay_alu instid0(VALU_DEP_1) | instskip(SKIP_1) | instid1(VALU_DEP_1)
	v_add_f64_e32 v[16:17], v[18:19], v[16:17]
	v_fma_f64 v[18:19], v[164:165], s[24:25], -v[221:222]
	v_add_f64_e32 v[8:9], v[18:19], v[8:9]
	v_fma_f64 v[18:19], v[170:171], s[28:29], v[223:224]
	s_delay_alu instid0(VALU_DEP_1) | instskip(SKIP_1) | instid1(VALU_DEP_2)
	v_add_f64_e32 v[16:17], v[18:19], v[16:17]
	v_fma_f64 v[18:19], v[177:178], s[2:3], -v[225:226]
	v_add_f64_e32 v[126:127], v[126:127], v[16:17]
	s_delay_alu instid0(VALU_DEP_2) | instskip(SKIP_3) | instid1(VALU_DEP_3)
	v_add_f64_e32 v[124:125], v[18:19], v[8:9]
	v_fma_f64 v[8:9], v[144:145], s[24:25], -v[22:23]
	v_fma_f64 v[16:17], v[152:153], s[2:3], -v[203:204]
	v_fma_f64 v[18:19], v[183:184], s[20:21], v[213:214]
	v_add_f64_e32 v[8:9], v[8:9], v[14:15]
	v_fma_f64 v[14:15], v[148:149], s[30:31], v[201:202]
	s_delay_alu instid0(VALU_DEP_2) | instskip(NEXT) | instid1(VALU_DEP_2)
	v_add_f64_e32 v[8:9], v[16:17], v[8:9]
	v_add_f64_e32 v[14:15], v[14:15], v[134:135]
	v_fma_f64 v[16:17], v[158:159], s[38:39], v[205:206]
	s_delay_alu instid0(VALU_DEP_1) | instskip(SKIP_1) | instid1(VALU_DEP_1)
	v_add_f64_e32 v[14:15], v[16:17], v[14:15]
	v_fma_f64 v[16:17], v[164:165], s[10:11], -v[207:208]
	v_add_f64_e32 v[8:9], v[16:17], v[8:9]
	v_fma_f64 v[16:17], v[170:171], s[16:17], v[209:210]
	s_delay_alu instid0(VALU_DEP_1) | instskip(SKIP_1) | instid1(VALU_DEP_2)
	v_add_f64_e32 v[14:15], v[16:17], v[14:15]
	v_fma_f64 v[16:17], v[177:178], s[18:19], -v[211:212]
	v_add_f64_e32 v[130:131], v[18:19], v[14:15]
	s_delay_alu instid0(VALU_DEP_2) | instskip(SKIP_4) | instid1(VALU_DEP_4)
	v_add_f64_e32 v[128:129], v[16:17], v[8:9]
	v_fma_f64 v[8:9], v[144:145], s[18:19], -v[187:188]
	v_fma_f64 v[14:15], v[152:153], s[24:25], -v[191:192]
	v_fma_f64 v[16:17], v[164:165], s[18:19], v[166:167]
	v_fma_f64 v[18:19], v[170:171], s[34:35], v[173:174]
	v_add_f64_e32 v[8:9], v[8:9], v[12:13]
	v_fma_f64 v[12:13], v[148:149], s[20:21], v[189:190]
	s_delay_alu instid0(VALU_DEP_2) | instskip(NEXT) | instid1(VALU_DEP_2)
	v_add_f64_e32 v[8:9], v[14:15], v[8:9]
	v_add_f64_e32 v[12:13], v[12:13], v[136:137]
	v_fma_f64 v[14:15], v[158:159], s[30:31], v[193:194]
	s_delay_alu instid0(VALU_DEP_1) | instskip(SKIP_1) | instid1(VALU_DEP_1)
	v_add_f64_e32 v[12:13], v[14:15], v[12:13]
	v_fma_f64 v[14:15], v[164:165], s[14:15], -v[195:196]
	v_add_f64_e32 v[8:9], v[14:15], v[8:9]
	v_fma_f64 v[14:15], v[170:171], s[36:37], v[197:198]
	s_delay_alu instid0(VALU_DEP_1) | instskip(SKIP_1) | instid1(VALU_DEP_2)
	v_add_f64_e32 v[12:13], v[14:15], v[12:13]
	v_fma_f64 v[14:15], v[177:178], s[10:11], -v[199:200]
	v_add_f64_e32 v[134:135], v[10:11], v[12:13]
	s_delay_alu instid0(VALU_DEP_2) | instskip(SKIP_4) | instid1(VALU_DEP_4)
	v_add_f64_e32 v[132:133], v[14:15], v[8:9]
	v_fma_f64 v[8:9], v[144:145], s[2:3], v[146:147]
	v_fma_f64 v[12:13], v[152:153], s[14:15], v[154:155]
	;; [unrolled: 1-line block ×4, first 2 shown]
	v_add_f64_e32 v[8:9], v[8:9], v[20:21]
	s_delay_alu instid0(VALU_DEP_3) | instskip(NEXT) | instid1(VALU_DEP_2)
	v_add_f64_e32 v[10:11], v[10:11], v[138:139]
	v_add_f64_e32 v[8:9], v[12:13], v[8:9]
	v_fma_f64 v[12:13], v[177:178], s[24:25], v[179:180]
	s_delay_alu instid0(VALU_DEP_3) | instskip(SKIP_1) | instid1(VALU_DEP_4)
	v_add_f64_e32 v[10:11], v[14:15], v[10:11]
	v_fma_f64 v[14:15], v[183:184], s[30:31], v[185:186]
	v_add_f64_e32 v[8:9], v[16:17], v[8:9]
	s_delay_alu instid0(VALU_DEP_3) | instskip(NEXT) | instid1(VALU_DEP_2)
	v_add_f64_e32 v[10:11], v[18:19], v[10:11]
	v_add_f64_e32 v[136:137], v[12:13], v[8:9]
	;; [unrolled: 1-line block ×3, first 2 shown]
	s_delay_alu instid0(VALU_DEP_3) | instskip(NEXT) | instid1(VALU_DEP_2)
	v_add_f64_e32 v[138:139], v[14:15], v[10:11]
	v_add_f64_e32 v[8:9], v[8:9], v[40:41]
	s_delay_alu instid0(VALU_DEP_1) | instskip(NEXT) | instid1(VALU_DEP_1)
	v_add_f64_e32 v[8:9], v[8:9], v[42:43]
	v_add_f64_e32 v[8:9], v[8:9], v[48:49]
	s_delay_alu instid0(VALU_DEP_1) | instskip(NEXT) | instid1(VALU_DEP_1)
	;; [unrolled: 3-line block ×3, first 2 shown]
	v_add_f64_e32 v[8:9], v[8:9], v[36:37]
	v_add_f64_e32 v[8:9], v[8:9], v[30:31]
	s_delay_alu instid0(VALU_DEP_1)
	v_add_f64_e32 v[24:25], v[8:9], v[24:25]
	ds_store_b128 v234, v[116:119] offset:1360
	ds_store_b128 v234, v[120:123] offset:1632
	;; [unrolled: 1-line block ×7, first 2 shown]
	ds_store_b128 v234, v[24:27]
	global_wb scope:SCOPE_SE
	s_wait_dscnt 0x0
	s_barrier_signal -1
	s_barrier_wait -1
	global_inv scope:SCOPE_SE
	ds_load_b128 v[24:27], v233
	ds_load_b128 v[4:7], v233 offset:1360
	ds_load_b128 v[44:47], v233 offset:2992
	;; [unrolled: 1-line block ×9, first 2 shown]
	s_and_saveexec_b32 s1, s0
	s_cbranch_execz .LBB0_19
; %bb.18:
	ds_load_b128 v[0:3], v233 offset:2720
	ds_load_b128 v[108:111], v233 offset:5712
	;; [unrolled: 1-line block ×5, first 2 shown]
.LBB0_19:
	s_wait_alu 0xfffe
	s_or_b32 exec_lo, exec_lo, s1
	s_wait_dscnt 0x7
	v_mul_f64_e32 v[8:9], v[70:71], v[46:47]
	s_wait_dscnt 0x5
	v_mul_f64_e32 v[10:11], v[86:87], v[50:51]
	;; [unrolled: 2-line block ×3, first 2 shown]
	v_mul_f64_e32 v[14:15], v[70:71], v[44:45]
	s_wait_dscnt 0x1
	v_mul_f64_e32 v[16:17], v[78:79], v[58:59]
	v_mul_f64_e32 v[18:19], v[86:87], v[48:49]
	;; [unrolled: 1-line block ×7, first 2 shown]
	s_wait_dscnt 0x0
	v_mul_f64_e32 v[86:87], v[66:67], v[42:43]
	v_mul_f64_e32 v[82:83], v[94:95], v[28:29]
	;; [unrolled: 1-line block ×5, first 2 shown]
	s_mov_b32 s2, 0x134454ff
	s_mov_b32 s3, 0xbfee6f0e
	;; [unrolled: 1-line block ×3, first 2 shown]
	s_wait_alu 0xfffe
	s_mov_b32 s10, s2
	s_mov_b32 s16, 0x4755a5e
	;; [unrolled: 1-line block ×4, first 2 shown]
	s_wait_alu 0xfffe
	s_mov_b32 s14, s16
	s_mov_b32 s18, 0x372fe950
	;; [unrolled: 1-line block ×3, first 2 shown]
	v_fma_f64 v[8:9], v[68:69], v[44:45], v[8:9]
	v_fma_f64 v[10:11], v[84:85], v[48:49], v[10:11]
	;; [unrolled: 1-line block ×3, first 2 shown]
	v_fma_f64 v[14:15], v[68:69], v[46:47], -v[14:15]
	v_fma_f64 v[16:17], v[76:77], v[56:57], v[16:17]
	v_fma_f64 v[18:19], v[84:85], v[50:51], -v[18:19]
	v_fma_f64 v[20:21], v[80:81], v[54:55], -v[20:21]
	;; [unrolled: 1-line block ×3, first 2 shown]
	v_fma_f64 v[28:29], v[92:93], v[28:29], v[61:62]
	v_fma_f64 v[32:33], v[88:89], v[32:33], v[70:71]
	;; [unrolled: 1-line block ×4, first 2 shown]
	v_fma_f64 v[30:31], v[92:93], v[30:31], -v[82:83]
	v_fma_f64 v[34:35], v[88:89], v[34:35], -v[90:91]
	;; [unrolled: 1-line block ×4, first 2 shown]
	v_add_f64_e32 v[61:62], v[24:25], v[8:9]
	v_add_f64_e32 v[44:45], v[10:11], v[12:13]
	;; [unrolled: 1-line block ×4, first 2 shown]
	v_add_f64_e64 v[73:74], v[8:9], -v[16:17]
	v_add_f64_e32 v[48:49], v[18:19], v[20:21]
	v_add_f64_e32 v[50:51], v[14:15], v[22:23]
	v_add_f64_e64 v[63:64], v[14:15], -v[22:23]
	v_add_f64_e32 v[69:70], v[4:5], v[28:29]
	v_add_f64_e32 v[52:53], v[32:33], v[36:37]
	;; [unrolled: 1-line block ×4, first 2 shown]
	v_add_f64_e64 v[65:66], v[18:19], -v[20:21]
	v_add_f64_e32 v[56:57], v[34:35], v[38:39]
	v_add_f64_e32 v[58:59], v[30:31], v[42:43]
	v_add_f64_e64 v[75:76], v[30:31], -v[42:43]
	v_add_f64_e64 v[77:78], v[28:29], -v[40:41]
	;; [unrolled: 1-line block ×16, first 2 shown]
	v_fma_f64 v[44:45], v[44:45], -0.5, v[24:25]
	v_add_f64_e32 v[18:19], v[67:68], v[18:19]
	v_fma_f64 v[24:25], v[46:47], -0.5, v[24:25]
	v_add_f64_e64 v[46:47], v[10:11], -v[12:13]
	v_fma_f64 v[48:49], v[48:49], -0.5, v[26:27]
	v_fma_f64 v[26:27], v[50:51], -0.5, v[26:27]
	v_add_f64_e64 v[50:51], v[34:35], -v[38:39]
	v_fma_f64 v[52:53], v[52:53], -0.5, v[4:5]
	v_fma_f64 v[4:5], v[54:55], -0.5, v[4:5]
	v_add_f64_e64 v[54:55], v[32:33], -v[36:37]
	v_add_f64_e32 v[32:33], v[69:70], v[32:33]
	v_fma_f64 v[56:57], v[56:57], -0.5, v[6:7]
	v_fma_f64 v[6:7], v[58:59], -0.5, v[6:7]
	v_add_f64_e64 v[58:59], v[8:9], -v[10:11]
	v_add_f64_e64 v[8:9], v[10:11], -v[8:9]
	v_add_f64_e32 v[10:11], v[61:62], v[10:11]
	v_add_f64_e32 v[34:35], v[71:72], v[34:35]
	;; [unrolled: 1-line block ×4, first 2 shown]
	v_fma_f64 v[61:62], v[63:64], s[2:3], v[44:45]
	v_fma_f64 v[44:45], v[63:64], s[10:11], v[44:45]
	;; [unrolled: 1-line block ×14, first 2 shown]
	v_add_f64_e32 v[58:59], v[58:59], v[79:80]
	v_add_f64_e32 v[79:80], v[83:84], v[85:86]
	;; [unrolled: 1-line block ×7, first 2 shown]
	v_fma_f64 v[6:7], v[54:55], s[10:11], v[6:7]
	v_fma_f64 v[56:57], v[77:78], s[2:3], v[56:57]
	v_add_f64_e32 v[8:9], v[8:9], v[81:82]
	v_add_f64_e32 v[81:82], v[89:90], v[91:92]
	;; [unrolled: 1-line block ×3, first 2 shown]
	v_fma_f64 v[32:33], v[65:66], s[16:17], v[61:62]
	s_wait_alu 0xfffe
	v_fma_f64 v[34:35], v[65:66], s[14:15], v[44:45]
	v_fma_f64 v[38:39], v[63:64], s[16:17], v[67:68]
	;; [unrolled: 1-line block ×13, first 2 shown]
	v_add_f64_e32 v[24:25], v[10:11], v[16:17]
	v_add_f64_e32 v[26:27], v[12:13], v[22:23]
	;; [unrolled: 1-line block ×4, first 2 shown]
	v_fma_f64 v[6:7], v[77:78], s[16:17], v[6:7]
	v_fma_f64 v[54:55], v[54:55], s[16:17], v[56:57]
	;; [unrolled: 1-line block ×13, first 2 shown]
	scratch_load_b32 v4, off, off offset:4 th:TH_LOAD_LU ; 4-byte Folded Reload
	v_fma_f64 v[52:53], v[81:82], s[18:19], v[50:51]
	v_fma_f64 v[50:51], v[85:86], s[18:19], v[69:70]
	;; [unrolled: 1-line block ×5, first 2 shown]
	ds_store_b128 v237, v[24:27]
	ds_store_b128 v237, v[28:31] offset:1360
	ds_store_b128 v237, v[32:35] offset:2992
	;; [unrolled: 1-line block ×9, first 2 shown]
	s_wait_loadcnt 0x0
	v_lshl_add_u32 v4, v4, 4, v255
	s_and_saveexec_b32 s1, s0
	s_cbranch_execz .LBB0_21
; %bb.20:
	s_clause 0x3
	scratch_load_b128 v[25:28], off, off offset:36 th:TH_LOAD_LU
	scratch_load_b128 v[21:24], off, off offset:20 th:TH_LOAD_LU
	scratch_load_b128 v[33:36], off, off offset:68 th:TH_LOAD_LU
	scratch_load_b128 v[29:32], off, off offset:52 th:TH_LOAD_LU
	s_wait_loadcnt 0x3
	v_mul_f64_e32 v[5:6], v[27:28], v[104:105]
	s_wait_loadcnt 0x2
	v_mul_f64_e32 v[11:12], v[23:24], v[100:101]
	;; [unrolled: 2-line block ×4, first 2 shown]
	v_mul_f64_e32 v[13:14], v[27:28], v[106:107]
	v_mul_f64_e32 v[15:16], v[23:24], v[102:103]
	;; [unrolled: 1-line block ×4, first 2 shown]
	v_fma_f64 v[5:6], v[25:26], v[106:107], -v[5:6]
	v_fma_f64 v[11:12], v[21:22], v[102:103], -v[11:12]
	;; [unrolled: 1-line block ×4, first 2 shown]
	v_fma_f64 v[13:14], v[25:26], v[104:105], v[13:14]
	v_fma_f64 v[15:16], v[21:22], v[100:101], v[15:16]
	;; [unrolled: 1-line block ×4, first 2 shown]
	v_add_f64_e32 v[23:24], v[5:6], v[11:12]
	v_add_f64_e32 v[33:34], v[2:3], v[7:8]
	;; [unrolled: 1-line block ×3, first 2 shown]
	v_add_f64_e64 v[37:38], v[7:8], -v[9:10]
	v_add_f64_e32 v[25:26], v[13:14], v[15:16]
	v_add_f64_e32 v[35:36], v[0:1], v[17:18]
	;; [unrolled: 1-line block ×3, first 2 shown]
	v_add_f64_e64 v[29:30], v[13:14], -v[15:16]
	v_add_f64_e64 v[31:32], v[17:18], -v[19:20]
	v_add_f64_e64 v[39:40], v[11:12], -v[9:10]
	v_add_f64_e64 v[41:42], v[9:10], -v[11:12]
	v_add_f64_e64 v[43:44], v[13:14], -v[17:18]
	v_add_f64_e64 v[17:18], v[17:18], -v[13:14]
	v_add_f64_e64 v[45:46], v[15:16], -v[19:20]
	v_add_f64_e64 v[47:48], v[19:20], -v[15:16]
	v_fma_f64 v[21:22], v[21:22], -0.5, v[2:3]
	v_fma_f64 v[2:3], v[23:24], -0.5, v[2:3]
	;; [unrolled: 1-line block ×3, first 2 shown]
	v_add_f64_e64 v[23:24], v[5:6], -v[11:12]
	v_fma_f64 v[0:1], v[27:28], -0.5, v[0:1]
	v_add_f64_e64 v[27:28], v[5:6], -v[7:8]
	v_add_f64_e64 v[7:8], v[7:8], -v[5:6]
	v_add_f64_e32 v[5:6], v[33:34], v[5:6]
	v_add_f64_e32 v[13:14], v[35:36], v[13:14]
	v_fma_f64 v[33:34], v[29:30], s[10:11], v[21:22]
	v_fma_f64 v[21:22], v[29:30], s[2:3], v[21:22]
	;; [unrolled: 1-line block ×8, first 2 shown]
	v_add_f64_e32 v[27:28], v[27:28], v[39:40]
	v_add_f64_e32 v[39:40], v[7:8], v[41:42]
	;; [unrolled: 1-line block ×6, first 2 shown]
	v_fma_f64 v[11:12], v[31:32], s[16:17], v[33:34]
	v_fma_f64 v[13:14], v[31:32], s[14:15], v[21:22]
	v_fma_f64 v[15:16], v[29:30], s[16:17], v[35:36]
	v_fma_f64 v[17:18], v[29:30], s[14:15], v[2:3]
	v_fma_f64 v[21:22], v[23:24], s[16:17], v[49:50]
	v_fma_f64 v[29:30], v[37:38], s[16:17], v[51:52]
	v_fma_f64 v[31:32], v[37:38], s[14:15], v[0:1]
	v_fma_f64 v[23:24], v[23:24], s[14:15], v[25:26]
	v_add_f64_e32 v[2:3], v[5:6], v[9:10]
	v_add_f64_e32 v[0:1], v[7:8], v[19:20]
	v_fma_f64 v[7:8], v[27:28], s[18:19], v[11:12]
	v_fma_f64 v[11:12], v[27:28], s[18:19], v[13:14]
	;; [unrolled: 1-line block ×8, first 2 shown]
	ds_store_b128 v4, v[0:3] offset:2720
	ds_store_b128 v4, v[17:20] offset:5712
	;; [unrolled: 1-line block ×5, first 2 shown]
.LBB0_21:
	s_wait_alu 0xfffe
	s_or_b32 exec_lo, exec_lo, s1
	global_wb scope:SCOPE_SE
	s_wait_dscnt 0x0
	s_barrier_signal -1
	s_barrier_wait -1
	global_inv scope:SCOPE_SE
	s_and_b32 exec_lo, exec_lo, vcc_lo
	s_cbranch_execz .LBB0_23
; %bb.22:
	global_load_b128 v[0:3], v255, s[8:9]
	ds_load_b128 v[5:8], v237
	ds_load_b128 v[9:12], v4 offset:880
	scratch_load_b32 v16, off, off th:TH_LOAD_LU ; 4-byte Folded Reload
	s_mov_b32 s0, 0xfa401186
	s_mov_b32 s1, 0x3f5185e2
	s_mul_u64 s[2:3], s[4:5], 0x370
	s_wait_loadcnt_dscnt 0x101
	v_mul_f64_e32 v[13:14], v[7:8], v[2:3]
	v_mul_f64_e32 v[2:3], v[5:6], v[2:3]
	s_delay_alu instid0(VALU_DEP_2) | instskip(NEXT) | instid1(VALU_DEP_2)
	v_fma_f64 v[5:6], v[5:6], v[0:1], v[13:14]
	v_fma_f64 v[2:3], v[0:1], v[7:8], -v[2:3]
	v_mad_co_u64_u32 v[7:8], null, s6, v172, 0
	s_wait_loadcnt 0x0
	v_mad_co_u64_u32 v[13:14], null, s4, v16, 0
	s_wait_alu 0xfffe
	s_delay_alu instid0(VALU_DEP_4) | instskip(NEXT) | instid1(VALU_DEP_4)
	v_mul_f64_e32 v[0:1], s[0:1], v[5:6]
	v_mul_f64_e32 v[2:3], s[0:1], v[2:3]
	s_delay_alu instid0(VALU_DEP_3) | instskip(NEXT) | instid1(VALU_DEP_1)
	v_dual_mov_b32 v5, v8 :: v_dual_mov_b32 v6, v14
	v_mad_co_u64_u32 v[14:15], null, s7, v172, v[5:6]
	v_mad_co_u64_u32 v[5:6], null, s5, v16, v[6:7]
	s_delay_alu instid0(VALU_DEP_2) | instskip(NEXT) | instid1(VALU_DEP_2)
	v_mov_b32_e32 v8, v14
	v_mov_b32_e32 v14, v5
	s_delay_alu instid0(VALU_DEP_2) | instskip(NEXT) | instid1(VALU_DEP_2)
	v_lshlrev_b64_e32 v[5:6], 4, v[7:8]
	v_lshlrev_b64_e32 v[7:8], 4, v[13:14]
	s_delay_alu instid0(VALU_DEP_2) | instskip(NEXT) | instid1(VALU_DEP_3)
	v_add_co_u32 v5, vcc_lo, s12, v5
	v_add_co_ci_u32_e32 v6, vcc_lo, s13, v6, vcc_lo
	s_delay_alu instid0(VALU_DEP_2) | instskip(SKIP_1) | instid1(VALU_DEP_2)
	v_add_co_u32 v5, vcc_lo, v5, v7
	s_wait_alu 0xfffd
	v_add_co_ci_u32_e32 v6, vcc_lo, v6, v8, vcc_lo
	s_delay_alu instid0(VALU_DEP_2)
	v_add_co_u32 v13, vcc_lo, v5, s2
	global_store_b128 v[5:6], v[0:3], off
	global_load_b128 v[0:3], v255, s[8:9] offset:880
	s_wait_alu 0xfffd
	v_add_co_ci_u32_e32 v14, vcc_lo, s3, v6, vcc_lo
	s_wait_loadcnt_dscnt 0x0
	v_mul_f64_e32 v[7:8], v[11:12], v[2:3]
	v_mul_f64_e32 v[2:3], v[9:10], v[2:3]
	s_delay_alu instid0(VALU_DEP_2) | instskip(NEXT) | instid1(VALU_DEP_2)
	v_fma_f64 v[7:8], v[9:10], v[0:1], v[7:8]
	v_fma_f64 v[2:3], v[0:1], v[11:12], -v[2:3]
	s_delay_alu instid0(VALU_DEP_2) | instskip(NEXT) | instid1(VALU_DEP_2)
	v_mul_f64_e32 v[0:1], s[0:1], v[7:8]
	v_mul_f64_e32 v[2:3], s[0:1], v[2:3]
	global_store_b128 v[13:14], v[0:3], off
	global_load_b128 v[0:3], v255, s[8:9] offset:1760
	ds_load_b128 v[5:8], v4 offset:1760
	ds_load_b128 v[9:12], v4 offset:2640
	s_wait_loadcnt_dscnt 0x1
	v_mul_f64_e32 v[15:16], v[7:8], v[2:3]
	v_mul_f64_e32 v[2:3], v[5:6], v[2:3]
	s_delay_alu instid0(VALU_DEP_2) | instskip(NEXT) | instid1(VALU_DEP_2)
	v_fma_f64 v[5:6], v[5:6], v[0:1], v[15:16]
	v_fma_f64 v[2:3], v[0:1], v[7:8], -v[2:3]
	s_delay_alu instid0(VALU_DEP_2) | instskip(NEXT) | instid1(VALU_DEP_2)
	v_mul_f64_e32 v[0:1], s[0:1], v[5:6]
	v_mul_f64_e32 v[2:3], s[0:1], v[2:3]
	v_add_co_u32 v5, vcc_lo, v13, s2
	s_wait_alu 0xfffd
	v_add_co_ci_u32_e32 v6, vcc_lo, s3, v14, vcc_lo
	s_delay_alu instid0(VALU_DEP_2) | instskip(SKIP_1) | instid1(VALU_DEP_2)
	v_add_co_u32 v13, vcc_lo, v5, s2
	s_wait_alu 0xfffd
	v_add_co_ci_u32_e32 v14, vcc_lo, s3, v6, vcc_lo
	global_store_b128 v[5:6], v[0:3], off
	global_load_b128 v[0:3], v255, s[8:9] offset:2640
	s_wait_loadcnt_dscnt 0x0
	v_mul_f64_e32 v[7:8], v[11:12], v[2:3]
	v_mul_f64_e32 v[2:3], v[9:10], v[2:3]
	s_delay_alu instid0(VALU_DEP_2) | instskip(NEXT) | instid1(VALU_DEP_2)
	v_fma_f64 v[7:8], v[9:10], v[0:1], v[7:8]
	v_fma_f64 v[2:3], v[0:1], v[11:12], -v[2:3]
	s_delay_alu instid0(VALU_DEP_2) | instskip(NEXT) | instid1(VALU_DEP_2)
	v_mul_f64_e32 v[0:1], s[0:1], v[7:8]
	v_mul_f64_e32 v[2:3], s[0:1], v[2:3]
	global_store_b128 v[13:14], v[0:3], off
	global_load_b128 v[0:3], v255, s[8:9] offset:3520
	ds_load_b128 v[5:8], v4 offset:3520
	ds_load_b128 v[9:12], v4 offset:4400
	s_wait_loadcnt_dscnt 0x1
	v_mul_f64_e32 v[15:16], v[7:8], v[2:3]
	v_mul_f64_e32 v[2:3], v[5:6], v[2:3]
	s_delay_alu instid0(VALU_DEP_2) | instskip(NEXT) | instid1(VALU_DEP_2)
	v_fma_f64 v[5:6], v[5:6], v[0:1], v[15:16]
	v_fma_f64 v[2:3], v[0:1], v[7:8], -v[2:3]
	s_delay_alu instid0(VALU_DEP_2) | instskip(NEXT) | instid1(VALU_DEP_2)
	v_mul_f64_e32 v[0:1], s[0:1], v[5:6]
	v_mul_f64_e32 v[2:3], s[0:1], v[2:3]
	v_add_co_u32 v5, vcc_lo, v13, s2
	s_wait_alu 0xfffd
	v_add_co_ci_u32_e32 v6, vcc_lo, s3, v14, vcc_lo
	s_delay_alu instid0(VALU_DEP_2) | instskip(SKIP_1) | instid1(VALU_DEP_2)
	v_add_co_u32 v13, vcc_lo, v5, s2
	s_wait_alu 0xfffd
	v_add_co_ci_u32_e32 v14, vcc_lo, s3, v6, vcc_lo
	global_store_b128 v[5:6], v[0:3], off
	global_load_b128 v[0:3], v255, s[8:9] offset:4400
	;; [unrolled: 31-line block ×6, first 2 shown]
	s_wait_loadcnt_dscnt 0x0
	v_mul_f64_e32 v[7:8], v[11:12], v[2:3]
	v_mul_f64_e32 v[2:3], v[9:10], v[2:3]
	s_delay_alu instid0(VALU_DEP_2) | instskip(NEXT) | instid1(VALU_DEP_2)
	v_fma_f64 v[7:8], v[9:10], v[0:1], v[7:8]
	v_fma_f64 v[2:3], v[0:1], v[11:12], -v[2:3]
	s_delay_alu instid0(VALU_DEP_2) | instskip(NEXT) | instid1(VALU_DEP_2)
	v_mul_f64_e32 v[0:1], s[0:1], v[7:8]
	v_mul_f64_e32 v[2:3], s[0:1], v[2:3]
	global_store_b128 v[13:14], v[0:3], off
	global_load_b128 v[0:3], v255, s[8:9] offset:12320
	ds_load_b128 v[5:8], v4 offset:12320
	ds_load_b128 v[9:12], v4 offset:13200
	s_wait_loadcnt_dscnt 0x1
	v_mul_f64_e32 v[15:16], v[7:8], v[2:3]
	v_mul_f64_e32 v[2:3], v[5:6], v[2:3]
	s_delay_alu instid0(VALU_DEP_2) | instskip(NEXT) | instid1(VALU_DEP_2)
	v_fma_f64 v[5:6], v[5:6], v[0:1], v[15:16]
	v_fma_f64 v[2:3], v[0:1], v[7:8], -v[2:3]
	s_delay_alu instid0(VALU_DEP_2) | instskip(NEXT) | instid1(VALU_DEP_2)
	v_mul_f64_e32 v[0:1], s[0:1], v[5:6]
	v_mul_f64_e32 v[2:3], s[0:1], v[2:3]
	v_add_co_u32 v5, vcc_lo, v13, s2
	s_wait_alu 0xfffd
	v_add_co_ci_u32_e32 v6, vcc_lo, s3, v14, vcc_lo
	global_store_b128 v[5:6], v[0:3], off
	global_load_b128 v[0:3], v255, s[8:9] offset:13200
	s_wait_loadcnt_dscnt 0x0
	v_mul_f64_e32 v[7:8], v[11:12], v[2:3]
	v_mul_f64_e32 v[2:3], v[9:10], v[2:3]
	s_delay_alu instid0(VALU_DEP_2) | instskip(NEXT) | instid1(VALU_DEP_2)
	v_fma_f64 v[7:8], v[9:10], v[0:1], v[7:8]
	v_fma_f64 v[2:3], v[0:1], v[11:12], -v[2:3]
	s_delay_alu instid0(VALU_DEP_2) | instskip(NEXT) | instid1(VALU_DEP_2)
	v_mul_f64_e32 v[0:1], s[0:1], v[7:8]
	v_mul_f64_e32 v[2:3], s[0:1], v[2:3]
	v_add_co_u32 v8, vcc_lo, v5, s2
	s_wait_alu 0xfffd
	v_add_co_ci_u32_e32 v9, vcc_lo, s3, v6, vcc_lo
	ds_load_b128 v[4:7], v4 offset:14080
	global_store_b128 v[8:9], v[0:3], off
	global_load_b128 v[0:3], v255, s[8:9] offset:14080
	s_wait_loadcnt_dscnt 0x0
	v_mul_f64_e32 v[10:11], v[6:7], v[2:3]
	v_mul_f64_e32 v[2:3], v[4:5], v[2:3]
	s_delay_alu instid0(VALU_DEP_2) | instskip(NEXT) | instid1(VALU_DEP_2)
	v_fma_f64 v[4:5], v[4:5], v[0:1], v[10:11]
	v_fma_f64 v[2:3], v[0:1], v[6:7], -v[2:3]
	s_delay_alu instid0(VALU_DEP_2) | instskip(NEXT) | instid1(VALU_DEP_2)
	v_mul_f64_e32 v[0:1], s[0:1], v[4:5]
	v_mul_f64_e32 v[2:3], s[0:1], v[2:3]
	v_add_co_u32 v4, vcc_lo, v8, s2
	s_wait_alu 0xfffd
	v_add_co_ci_u32_e32 v5, vcc_lo, s3, v9, vcc_lo
	global_store_b128 v[4:5], v[0:3], off
.LBB0_23:
	s_nop 0
	s_sendmsg sendmsg(MSG_DEALLOC_VGPRS)
	s_endpgm
	.section	.rodata,"a",@progbits
	.p2align	6, 0x0
	.amdhsa_kernel bluestein_single_fwd_len935_dim1_dp_op_CI_CI
		.amdhsa_group_segment_fixed_size 44880
		.amdhsa_private_segment_fixed_size 496
		.amdhsa_kernarg_size 104
		.amdhsa_user_sgpr_count 2
		.amdhsa_user_sgpr_dispatch_ptr 0
		.amdhsa_user_sgpr_queue_ptr 0
		.amdhsa_user_sgpr_kernarg_segment_ptr 1
		.amdhsa_user_sgpr_dispatch_id 0
		.amdhsa_user_sgpr_private_segment_size 0
		.amdhsa_wavefront_size32 1
		.amdhsa_uses_dynamic_stack 0
		.amdhsa_enable_private_segment 1
		.amdhsa_system_sgpr_workgroup_id_x 1
		.amdhsa_system_sgpr_workgroup_id_y 0
		.amdhsa_system_sgpr_workgroup_id_z 0
		.amdhsa_system_sgpr_workgroup_info 0
		.amdhsa_system_vgpr_workitem_id 0
		.amdhsa_next_free_vgpr 256
		.amdhsa_next_free_sgpr 60
		.amdhsa_reserve_vcc 1
		.amdhsa_float_round_mode_32 0
		.amdhsa_float_round_mode_16_64 0
		.amdhsa_float_denorm_mode_32 3
		.amdhsa_float_denorm_mode_16_64 3
		.amdhsa_fp16_overflow 0
		.amdhsa_workgroup_processor_mode 1
		.amdhsa_memory_ordered 1
		.amdhsa_forward_progress 0
		.amdhsa_round_robin_scheduling 0
		.amdhsa_exception_fp_ieee_invalid_op 0
		.amdhsa_exception_fp_denorm_src 0
		.amdhsa_exception_fp_ieee_div_zero 0
		.amdhsa_exception_fp_ieee_overflow 0
		.amdhsa_exception_fp_ieee_underflow 0
		.amdhsa_exception_fp_ieee_inexact 0
		.amdhsa_exception_int_div_zero 0
	.end_amdhsa_kernel
	.text
.Lfunc_end0:
	.size	bluestein_single_fwd_len935_dim1_dp_op_CI_CI, .Lfunc_end0-bluestein_single_fwd_len935_dim1_dp_op_CI_CI
                                        ; -- End function
	.section	.AMDGPU.csdata,"",@progbits
; Kernel info:
; codeLenInByte = 27796
; NumSgprs: 62
; NumVgprs: 256
; ScratchSize: 496
; MemoryBound: 0
; FloatMode: 240
; IeeeMode: 1
; LDSByteSize: 44880 bytes/workgroup (compile time only)
; SGPRBlocks: 7
; VGPRBlocks: 31
; NumSGPRsForWavesPerEU: 62
; NumVGPRsForWavesPerEU: 256
; Occupancy: 4
; WaveLimiterHint : 1
; COMPUTE_PGM_RSRC2:SCRATCH_EN: 1
; COMPUTE_PGM_RSRC2:USER_SGPR: 2
; COMPUTE_PGM_RSRC2:TRAP_HANDLER: 0
; COMPUTE_PGM_RSRC2:TGID_X_EN: 1
; COMPUTE_PGM_RSRC2:TGID_Y_EN: 0
; COMPUTE_PGM_RSRC2:TGID_Z_EN: 0
; COMPUTE_PGM_RSRC2:TIDIG_COMP_CNT: 0
	.text
	.p2alignl 7, 3214868480
	.fill 96, 4, 3214868480
	.type	__hip_cuid_6657139d4a37d6e2,@object ; @__hip_cuid_6657139d4a37d6e2
	.section	.bss,"aw",@nobits
	.globl	__hip_cuid_6657139d4a37d6e2
__hip_cuid_6657139d4a37d6e2:
	.byte	0                               ; 0x0
	.size	__hip_cuid_6657139d4a37d6e2, 1

	.ident	"AMD clang version 19.0.0git (https://github.com/RadeonOpenCompute/llvm-project roc-6.4.0 25133 c7fe45cf4b819c5991fe208aaa96edf142730f1d)"
	.section	".note.GNU-stack","",@progbits
	.addrsig
	.addrsig_sym __hip_cuid_6657139d4a37d6e2
	.amdgpu_metadata
---
amdhsa.kernels:
  - .args:
      - .actual_access:  read_only
        .address_space:  global
        .offset:         0
        .size:           8
        .value_kind:     global_buffer
      - .actual_access:  read_only
        .address_space:  global
        .offset:         8
        .size:           8
        .value_kind:     global_buffer
      - .actual_access:  read_only
        .address_space:  global
        .offset:         16
        .size:           8
        .value_kind:     global_buffer
      - .actual_access:  read_only
        .address_space:  global
        .offset:         24
        .size:           8
        .value_kind:     global_buffer
      - .actual_access:  read_only
        .address_space:  global
        .offset:         32
        .size:           8
        .value_kind:     global_buffer
      - .offset:         40
        .size:           8
        .value_kind:     by_value
      - .address_space:  global
        .offset:         48
        .size:           8
        .value_kind:     global_buffer
      - .address_space:  global
        .offset:         56
        .size:           8
        .value_kind:     global_buffer
      - .address_space:  global
        .offset:         64
        .size:           8
        .value_kind:     global_buffer
      - .address_space:  global
        .offset:         72
        .size:           8
        .value_kind:     global_buffer
      - .offset:         80
        .size:           4
        .value_kind:     by_value
      - .address_space:  global
        .offset:         88
        .size:           8
        .value_kind:     global_buffer
      - .address_space:  global
        .offset:         96
        .size:           8
        .value_kind:     global_buffer
    .group_segment_fixed_size: 44880
    .kernarg_segment_align: 8
    .kernarg_segment_size: 104
    .language:       OpenCL C
    .language_version:
      - 2
      - 0
    .max_flat_workgroup_size: 255
    .name:           bluestein_single_fwd_len935_dim1_dp_op_CI_CI
    .private_segment_fixed_size: 496
    .sgpr_count:     62
    .sgpr_spill_count: 0
    .symbol:         bluestein_single_fwd_len935_dim1_dp_op_CI_CI.kd
    .uniform_work_group_size: 1
    .uses_dynamic_stack: false
    .vgpr_count:     256
    .vgpr_spill_count: 220
    .wavefront_size: 32
    .workgroup_processor_mode: 1
amdhsa.target:   amdgcn-amd-amdhsa--gfx1201
amdhsa.version:
  - 1
  - 2
...

	.end_amdgpu_metadata
